;; amdgpu-corpus repo=ROCm/rocFFT kind=compiled arch=gfx906 opt=O3
	.text
	.amdgcn_target "amdgcn-amd-amdhsa--gfx906"
	.amdhsa_code_object_version 6
	.protected	fft_rtc_back_len3200_factors_10_10_4_4_2_wgs_160_tpt_160_halfLds_dp_ip_CI_sbrr_dirReg ; -- Begin function fft_rtc_back_len3200_factors_10_10_4_4_2_wgs_160_tpt_160_halfLds_dp_ip_CI_sbrr_dirReg
	.globl	fft_rtc_back_len3200_factors_10_10_4_4_2_wgs_160_tpt_160_halfLds_dp_ip_CI_sbrr_dirReg
	.p2align	8
	.type	fft_rtc_back_len3200_factors_10_10_4_4_2_wgs_160_tpt_160_halfLds_dp_ip_CI_sbrr_dirReg,@function
fft_rtc_back_len3200_factors_10_10_4_4_2_wgs_160_tpt_160_halfLds_dp_ip_CI_sbrr_dirReg: ; @fft_rtc_back_len3200_factors_10_10_4_4_2_wgs_160_tpt_160_halfLds_dp_ip_CI_sbrr_dirReg
; %bb.0:
	s_load_dwordx2 s[14:15], s[4:5], 0x18
	s_load_dwordx4 s[8:11], s[4:5], 0x0
	s_load_dwordx2 s[12:13], s[4:5], 0x50
	v_mul_u32_u24_e32 v1, 0x19a, v0
	v_add_u32_sdwa v5, s6, v1 dst_sel:DWORD dst_unused:UNUSED_PAD src0_sel:DWORD src1_sel:WORD_1
	s_waitcnt lgkmcnt(0)
	s_load_dwordx2 s[2:3], s[14:15], 0x0
	v_cmp_lt_u64_e64 s[0:1], s[10:11], 2
	v_mov_b32_e32 v3, 0
	v_mov_b32_e32 v1, 0
	;; [unrolled: 1-line block ×3, first 2 shown]
	s_and_b64 vcc, exec, s[0:1]
	v_mov_b32_e32 v2, 0
	s_cbranch_vccnz .LBB0_8
; %bb.1:
	s_load_dwordx2 s[0:1], s[4:5], 0x10
	s_add_u32 s6, s14, 8
	s_addc_u32 s7, s15, 0
	v_mov_b32_e32 v1, 0
	v_mov_b32_e32 v2, 0
	s_waitcnt lgkmcnt(0)
	s_add_u32 s16, s0, 8
	s_addc_u32 s17, s1, 0
	s_mov_b64 s[18:19], 1
.LBB0_2:                                ; =>This Inner Loop Header: Depth=1
	s_load_dwordx2 s[20:21], s[16:17], 0x0
                                        ; implicit-def: $vgpr7_vgpr8
	s_waitcnt lgkmcnt(0)
	v_or_b32_e32 v4, s21, v6
	v_cmp_ne_u64_e32 vcc, 0, v[3:4]
	s_and_saveexec_b64 s[0:1], vcc
	s_xor_b64 s[22:23], exec, s[0:1]
	s_cbranch_execz .LBB0_4
; %bb.3:                                ;   in Loop: Header=BB0_2 Depth=1
	v_cvt_f32_u32_e32 v4, s20
	v_cvt_f32_u32_e32 v7, s21
	s_sub_u32 s0, 0, s20
	s_subb_u32 s1, 0, s21
	v_mac_f32_e32 v4, 0x4f800000, v7
	v_rcp_f32_e32 v4, v4
	v_mul_f32_e32 v4, 0x5f7ffffc, v4
	v_mul_f32_e32 v7, 0x2f800000, v4
	v_trunc_f32_e32 v7, v7
	v_mac_f32_e32 v4, 0xcf800000, v7
	v_cvt_u32_f32_e32 v7, v7
	v_cvt_u32_f32_e32 v4, v4
	v_mul_lo_u32 v8, s0, v7
	v_mul_hi_u32 v9, s0, v4
	v_mul_lo_u32 v11, s1, v4
	v_mul_lo_u32 v10, s0, v4
	v_add_u32_e32 v8, v9, v8
	v_add_u32_e32 v8, v8, v11
	v_mul_hi_u32 v9, v4, v10
	v_mul_lo_u32 v11, v4, v8
	v_mul_hi_u32 v13, v4, v8
	v_mul_hi_u32 v12, v7, v10
	v_mul_lo_u32 v10, v7, v10
	v_mul_hi_u32 v14, v7, v8
	v_add_co_u32_e32 v9, vcc, v9, v11
	v_addc_co_u32_e32 v11, vcc, 0, v13, vcc
	v_mul_lo_u32 v8, v7, v8
	v_add_co_u32_e32 v9, vcc, v9, v10
	v_addc_co_u32_e32 v9, vcc, v11, v12, vcc
	v_addc_co_u32_e32 v10, vcc, 0, v14, vcc
	v_add_co_u32_e32 v8, vcc, v9, v8
	v_addc_co_u32_e32 v9, vcc, 0, v10, vcc
	v_add_co_u32_e32 v4, vcc, v4, v8
	v_addc_co_u32_e32 v7, vcc, v7, v9, vcc
	v_mul_lo_u32 v8, s0, v7
	v_mul_hi_u32 v9, s0, v4
	v_mul_lo_u32 v10, s1, v4
	v_mul_lo_u32 v11, s0, v4
	v_add_u32_e32 v8, v9, v8
	v_add_u32_e32 v8, v8, v10
	v_mul_lo_u32 v12, v4, v8
	v_mul_hi_u32 v13, v4, v11
	v_mul_hi_u32 v14, v4, v8
	;; [unrolled: 1-line block ×3, first 2 shown]
	v_mul_lo_u32 v11, v7, v11
	v_mul_hi_u32 v9, v7, v8
	v_add_co_u32_e32 v12, vcc, v13, v12
	v_addc_co_u32_e32 v13, vcc, 0, v14, vcc
	v_mul_lo_u32 v8, v7, v8
	v_add_co_u32_e32 v11, vcc, v12, v11
	v_addc_co_u32_e32 v10, vcc, v13, v10, vcc
	v_addc_co_u32_e32 v9, vcc, 0, v9, vcc
	v_add_co_u32_e32 v8, vcc, v10, v8
	v_addc_co_u32_e32 v9, vcc, 0, v9, vcc
	v_add_co_u32_e32 v4, vcc, v4, v8
	v_addc_co_u32_e32 v9, vcc, v7, v9, vcc
	v_mad_u64_u32 v[7:8], s[0:1], v5, v9, 0
	v_mul_hi_u32 v10, v5, v4
	v_add_co_u32_e32 v11, vcc, v10, v7
	v_addc_co_u32_e32 v12, vcc, 0, v8, vcc
	v_mad_u64_u32 v[7:8], s[0:1], v6, v4, 0
	v_mad_u64_u32 v[9:10], s[0:1], v6, v9, 0
	v_add_co_u32_e32 v4, vcc, v11, v7
	v_addc_co_u32_e32 v4, vcc, v12, v8, vcc
	v_addc_co_u32_e32 v7, vcc, 0, v10, vcc
	v_add_co_u32_e32 v4, vcc, v4, v9
	v_addc_co_u32_e32 v9, vcc, 0, v7, vcc
	v_mul_lo_u32 v10, s21, v4
	v_mul_lo_u32 v11, s20, v9
	v_mad_u64_u32 v[7:8], s[0:1], s20, v4, 0
	v_add3_u32 v8, v8, v11, v10
	v_sub_u32_e32 v10, v6, v8
	v_mov_b32_e32 v11, s21
	v_sub_co_u32_e32 v7, vcc, v5, v7
	v_subb_co_u32_e64 v10, s[0:1], v10, v11, vcc
	v_subrev_co_u32_e64 v11, s[0:1], s20, v7
	v_subbrev_co_u32_e64 v10, s[0:1], 0, v10, s[0:1]
	v_cmp_le_u32_e64 s[0:1], s21, v10
	v_cndmask_b32_e64 v12, 0, -1, s[0:1]
	v_cmp_le_u32_e64 s[0:1], s20, v11
	v_cndmask_b32_e64 v11, 0, -1, s[0:1]
	v_cmp_eq_u32_e64 s[0:1], s21, v10
	v_cndmask_b32_e64 v10, v12, v11, s[0:1]
	v_add_co_u32_e64 v11, s[0:1], 2, v4
	v_addc_co_u32_e64 v12, s[0:1], 0, v9, s[0:1]
	v_add_co_u32_e64 v13, s[0:1], 1, v4
	v_addc_co_u32_e64 v14, s[0:1], 0, v9, s[0:1]
	v_subb_co_u32_e32 v8, vcc, v6, v8, vcc
	v_cmp_ne_u32_e64 s[0:1], 0, v10
	v_cmp_le_u32_e32 vcc, s21, v8
	v_cndmask_b32_e64 v10, v14, v12, s[0:1]
	v_cndmask_b32_e64 v12, 0, -1, vcc
	v_cmp_le_u32_e32 vcc, s20, v7
	v_cndmask_b32_e64 v7, 0, -1, vcc
	v_cmp_eq_u32_e32 vcc, s21, v8
	v_cndmask_b32_e32 v7, v12, v7, vcc
	v_cmp_ne_u32_e32 vcc, 0, v7
	v_cndmask_b32_e64 v7, v13, v11, s[0:1]
	v_cndmask_b32_e32 v8, v9, v10, vcc
	v_cndmask_b32_e32 v7, v4, v7, vcc
.LBB0_4:                                ;   in Loop: Header=BB0_2 Depth=1
	s_andn2_saveexec_b64 s[0:1], s[22:23]
	s_cbranch_execz .LBB0_6
; %bb.5:                                ;   in Loop: Header=BB0_2 Depth=1
	v_cvt_f32_u32_e32 v4, s20
	s_sub_i32 s22, 0, s20
	v_rcp_iflag_f32_e32 v4, v4
	v_mul_f32_e32 v4, 0x4f7ffffe, v4
	v_cvt_u32_f32_e32 v4, v4
	v_mul_lo_u32 v7, s22, v4
	v_mul_hi_u32 v7, v4, v7
	v_add_u32_e32 v4, v4, v7
	v_mul_hi_u32 v4, v5, v4
	v_mul_lo_u32 v7, v4, s20
	v_add_u32_e32 v8, 1, v4
	v_sub_u32_e32 v7, v5, v7
	v_subrev_u32_e32 v9, s20, v7
	v_cmp_le_u32_e32 vcc, s20, v7
	v_cndmask_b32_e32 v7, v7, v9, vcc
	v_cndmask_b32_e32 v4, v4, v8, vcc
	v_add_u32_e32 v8, 1, v4
	v_cmp_le_u32_e32 vcc, s20, v7
	v_cndmask_b32_e32 v7, v4, v8, vcc
	v_mov_b32_e32 v8, v3
.LBB0_6:                                ;   in Loop: Header=BB0_2 Depth=1
	s_or_b64 exec, exec, s[0:1]
	v_mul_lo_u32 v4, v8, s20
	v_mul_lo_u32 v11, v7, s21
	v_mad_u64_u32 v[9:10], s[0:1], v7, s20, 0
	s_load_dwordx2 s[0:1], s[6:7], 0x0
	s_add_u32 s18, s18, 1
	v_add3_u32 v4, v10, v11, v4
	v_sub_co_u32_e32 v5, vcc, v5, v9
	v_subb_co_u32_e32 v4, vcc, v6, v4, vcc
	s_waitcnt lgkmcnt(0)
	v_mul_lo_u32 v4, s0, v4
	v_mul_lo_u32 v6, s1, v5
	v_mad_u64_u32 v[1:2], s[0:1], s0, v5, v[1:2]
	s_addc_u32 s19, s19, 0
	s_add_u32 s6, s6, 8
	v_add3_u32 v2, v6, v2, v4
	v_mov_b32_e32 v4, s10
	v_mov_b32_e32 v5, s11
	s_addc_u32 s7, s7, 0
	v_cmp_ge_u64_e32 vcc, s[18:19], v[4:5]
	s_add_u32 s16, s16, 8
	s_addc_u32 s17, s17, 0
	s_cbranch_vccnz .LBB0_9
; %bb.7:                                ;   in Loop: Header=BB0_2 Depth=1
	v_mov_b32_e32 v5, v7
	v_mov_b32_e32 v6, v8
	s_branch .LBB0_2
.LBB0_8:
	v_mov_b32_e32 v8, v6
	v_mov_b32_e32 v7, v5
.LBB0_9:
	s_lshl_b64 s[0:1], s[10:11], 3
	s_add_u32 s0, s14, s0
	s_addc_u32 s1, s15, s1
	s_load_dwordx2 s[6:7], s[0:1], 0x0
	s_load_dwordx2 s[10:11], s[4:5], 0x20
                                        ; implicit-def: $vgpr87
                                        ; implicit-def: $vgpr84
                                        ; implicit-def: $vgpr85
                                        ; implicit-def: $vgpr88
                                        ; implicit-def: $vgpr91
                                        ; implicit-def: $vgpr93
                                        ; implicit-def: $vgpr90
                                        ; implicit-def: $vgpr94
                                        ; implicit-def: $vgpr95
	s_waitcnt lgkmcnt(0)
	v_mad_u64_u32 v[1:2], s[0:1], s6, v7, v[1:2]
	s_mov_b32 s0, 0x199999a
	v_mul_lo_u32 v3, s6, v8
	v_mul_lo_u32 v4, s7, v7
	v_mul_hi_u32 v5, v0, s0
	v_cmp_gt_u64_e32 vcc, s[10:11], v[7:8]
	v_cmp_le_u64_e64 s[0:1], s[10:11], v[7:8]
	v_add3_u32 v2, v4, v2, v3
	v_mul_u32_u24_e32 v3, 0xa0, v5
	v_sub_u32_e32 v80, v0, v3
	s_and_saveexec_b64 s[4:5], s[0:1]
	s_xor_b64 s[0:1], exec, s[4:5]
; %bb.10:
	v_add_u32_e32 v87, 0xa0, v80
	v_add_u32_e32 v84, 0x140, v80
	v_add_u32_e32 v85, 0x280, v80
	v_add_u32_e32 v88, 0x3c0, v80
	v_or_b32_e32 v91, 0x500, v80
	v_add_u32_e32 v93, 0x320, v80
	v_add_u32_e32 v90, 0x1e0, v80
	;; [unrolled: 1-line block ×4, first 2 shown]
; %bb.11:
	s_or_saveexec_b64 s[4:5], s[0:1]
	v_lshlrev_b64 v[82:83], 4, v[1:2]
                                        ; implicit-def: $vgpr54_vgpr55
                                        ; implicit-def: $vgpr62_vgpr63
                                        ; implicit-def: $vgpr50_vgpr51
                                        ; implicit-def: $vgpr70_vgpr71
                                        ; implicit-def: $vgpr42_vgpr43
                                        ; implicit-def: $vgpr30_vgpr31
                                        ; implicit-def: $vgpr14_vgpr15
                                        ; implicit-def: $vgpr26_vgpr27
                                        ; implicit-def: $vgpr6_vgpr7
                                        ; implicit-def: $vgpr22_vgpr23
                                        ; implicit-def: $vgpr2_vgpr3
                                        ; implicit-def: $vgpr38_vgpr39
                                        ; implicit-def: $vgpr18_vgpr19
                                        ; implicit-def: $vgpr34_vgpr35
                                        ; implicit-def: $vgpr10_vgpr11
                                        ; implicit-def: $vgpr66_vgpr67
                                        ; implicit-def: $vgpr46_vgpr47
                                        ; implicit-def: $vgpr74_vgpr75
                                        ; implicit-def: $vgpr58_vgpr59
                                        ; implicit-def: $vgpr78_vgpr79
	s_xor_b64 exec, exec, s[4:5]
	s_cbranch_execz .LBB0_13
; %bb.12:
	v_mad_u64_u32 v[0:1], s[0:1], s2, v80, 0
	v_add_u32_e32 v84, 0x140, v80
	v_mov_b32_e32 v4, s13
	v_mad_u64_u32 v[1:2], s[0:1], s3, v80, v[1:2]
	v_mad_u64_u32 v[2:3], s[0:1], s2, v84, 0
	v_add_co_u32_e64 v24, s[0:1], s12, v82
	v_addc_co_u32_e64 v25, s[0:1], v4, v83, s[0:1]
	v_mad_u64_u32 v[3:4], s[0:1], s3, v84, v[3:4]
	v_add_u32_e32 v85, 0x280, v80
	v_mad_u64_u32 v[4:5], s[0:1], s2, v85, 0
	v_lshlrev_b64 v[0:1], 4, v[0:1]
	v_add_u32_e32 v88, 0x3c0, v80
	v_add_co_u32_e64 v0, s[0:1], v24, v0
	v_addc_co_u32_e64 v1, s[0:1], v25, v1, s[0:1]
	v_mad_u64_u32 v[5:6], s[0:1], s3, v85, v[5:6]
	v_mad_u64_u32 v[6:7], s[0:1], s2, v88, 0
	v_lshlrev_b64 v[2:3], 4, v[2:3]
	v_or_b32_e32 v91, 0x500, v80
	v_add_co_u32_e64 v2, s[0:1], v24, v2
	v_addc_co_u32_e64 v3, s[0:1], v25, v3, s[0:1]
	v_mad_u64_u32 v[7:8], s[0:1], s3, v88, v[7:8]
	v_mad_u64_u32 v[8:9], s[0:1], s2, v91, 0
	v_lshlrev_b64 v[4:5], 4, v[4:5]
	v_add_u32_e32 v12, 0x640, v80
	v_add_co_u32_e64 v4, s[0:1], v24, v4
	v_addc_co_u32_e64 v5, s[0:1], v25, v5, s[0:1]
	v_mad_u64_u32 v[9:10], s[0:1], s3, v91, v[9:10]
	v_mad_u64_u32 v[10:11], s[0:1], s2, v12, 0
	v_lshlrev_b64 v[6:7], 4, v[6:7]
	v_add_u32_e32 v14, 0x780, v80
	;; [unrolled: 6-line block ×3, first 2 shown]
	v_add_co_u32_e64 v16, s[0:1], v24, v8
	v_addc_co_u32_e64 v17, s[0:1], v25, v9, s[0:1]
	v_lshlrev_b64 v[8:9], 4, v[10:11]
	v_mov_b32_e32 v10, v13
	v_mad_u64_u32 v[10:11], s[0:1], s3, v14, v[10:11]
	v_add_u32_e32 v11, 0x8c0, v80
	v_mad_u64_u32 v[14:15], s[0:1], s2, v11, 0
	v_add_co_u32_e64 v18, s[0:1], v24, v8
	v_mov_b32_e32 v13, v10
	v_mov_b32_e32 v10, v15
	v_addc_co_u32_e64 v19, s[0:1], v25, v9, s[0:1]
	v_lshlrev_b64 v[8:9], 4, v[12:13]
	v_mad_u64_u32 v[10:11], s[0:1], s3, v11, v[10:11]
	v_or_b32_e32 v13, 0xa00, v80
	v_mad_u64_u32 v[11:12], s[0:1], s2, v13, 0
	v_add_co_u32_e64 v20, s[0:1], v24, v8
	v_mov_b32_e32 v15, v10
	v_mov_b32_e32 v10, v12
	v_addc_co_u32_e64 v21, s[0:1], v25, v9, s[0:1]
	v_lshlrev_b64 v[8:9], 4, v[14:15]
	v_mad_u64_u32 v[12:13], s[0:1], s3, v13, v[10:11]
	v_add_u32_e32 v15, 0xb40, v80
	v_mad_u64_u32 v[13:14], s[0:1], s2, v15, 0
	v_add_co_u32_e64 v22, s[0:1], v24, v8
	v_mov_b32_e32 v10, v14
	v_addc_co_u32_e64 v23, s[0:1], v25, v9, s[0:1]
	v_lshlrev_b64 v[8:9], 4, v[11:12]
	v_mad_u64_u32 v[10:11], s[0:1], s3, v15, v[10:11]
	v_mad_u64_u32 v[11:12], s[0:1], s2, v87, 0
	v_add_co_u32_e64 v36, s[0:1], v24, v8
	v_mov_b32_e32 v14, v10
	v_mov_b32_e32 v10, v12
	v_addc_co_u32_e64 v37, s[0:1], v25, v9, s[0:1]
	v_lshlrev_b64 v[8:9], 4, v[13:14]
	v_mad_u64_u32 v[12:13], s[0:1], s3, v87, v[10:11]
	v_add_u32_e32 v90, 0x1e0, v80
	v_mad_u64_u32 v[13:14], s[0:1], s2, v90, 0
	v_add_co_u32_e64 v38, s[0:1], v24, v8
	v_mov_b32_e32 v10, v14
	v_addc_co_u32_e64 v39, s[0:1], v25, v9, s[0:1]
	v_lshlrev_b64 v[8:9], 4, v[11:12]
	v_mad_u64_u32 v[10:11], s[0:1], s3, v90, v[10:11]
	v_add_u32_e32 v93, 0x320, v80
	v_mad_u64_u32 v[11:12], s[0:1], s2, v93, 0
	v_add_co_u32_e64 v96, s[0:1], v24, v8
	v_mov_b32_e32 v14, v10
	v_mov_b32_e32 v10, v12
	v_addc_co_u32_e64 v97, s[0:1], v25, v9, s[0:1]
	v_lshlrev_b64 v[8:9], 4, v[13:14]
	v_mad_u64_u32 v[12:13], s[0:1], s3, v93, v[10:11]
	v_add_u32_e32 v94, 0x460, v80
	v_mad_u64_u32 v[13:14], s[0:1], s2, v94, 0
	v_add_co_u32_e64 v98, s[0:1], v24, v8
	v_mov_b32_e32 v10, v14
	v_addc_co_u32_e64 v99, s[0:1], v25, v9, s[0:1]
	v_lshlrev_b64 v[8:9], 4, v[11:12]
	v_mad_u64_u32 v[10:11], s[0:1], s3, v94, v[10:11]
	v_add_u32_e32 v95, 0x5a0, v80
	v_mad_u64_u32 v[11:12], s[0:1], s2, v95, 0
	v_add_co_u32_e64 v100, s[0:1], v24, v8
	v_mov_b32_e32 v14, v10
	v_mov_b32_e32 v10, v12
	v_addc_co_u32_e64 v101, s[0:1], v25, v9, s[0:1]
	v_lshlrev_b64 v[8:9], 4, v[13:14]
	v_mad_u64_u32 v[12:13], s[0:1], s3, v95, v[10:11]
	v_add_u32_e32 v15, 0x6e0, v80
	v_mad_u64_u32 v[13:14], s[0:1], s2, v15, 0
	v_add_co_u32_e64 v102, s[0:1], v24, v8
	v_mov_b32_e32 v10, v14
	v_addc_co_u32_e64 v103, s[0:1], v25, v9, s[0:1]
	v_lshlrev_b64 v[8:9], 4, v[11:12]
	v_mad_u64_u32 v[10:11], s[0:1], s3, v15, v[10:11]
	v_add_u32_e32 v15, 0x820, v80
	v_mad_u64_u32 v[11:12], s[0:1], s2, v15, 0
	v_add_co_u32_e64 v104, s[0:1], v24, v8
	v_mov_b32_e32 v14, v10
	v_mov_b32_e32 v10, v12
	v_addc_co_u32_e64 v105, s[0:1], v25, v9, s[0:1]
	v_lshlrev_b64 v[8:9], 4, v[13:14]
	v_mad_u64_u32 v[12:13], s[0:1], s3, v15, v[10:11]
	v_add_u32_e32 v15, 0x960, v80
	v_mad_u64_u32 v[13:14], s[0:1], s2, v15, 0
	v_add_co_u32_e64 v106, s[0:1], v24, v8
	v_mov_b32_e32 v10, v14
	v_addc_co_u32_e64 v107, s[0:1], v25, v9, s[0:1]
	v_lshlrev_b64 v[8:9], 4, v[11:12]
	v_mad_u64_u32 v[10:11], s[0:1], s3, v15, v[10:11]
	v_add_u32_e32 v15, 0xaa0, v80
	v_mad_u64_u32 v[11:12], s[0:1], s2, v15, 0
	v_add_co_u32_e64 v108, s[0:1], v24, v8
	v_mov_b32_e32 v14, v10
	v_mov_b32_e32 v10, v12
	v_addc_co_u32_e64 v109, s[0:1], v25, v9, s[0:1]
	v_lshlrev_b64 v[8:9], 4, v[13:14]
	v_mad_u64_u32 v[12:13], s[0:1], s3, v15, v[10:11]
	v_add_u32_e32 v15, 0xbe0, v80
	v_mad_u64_u32 v[13:14], s[0:1], s2, v15, 0
	v_add_co_u32_e64 v110, s[0:1], v24, v8
	v_mov_b32_e32 v10, v14
	v_addc_co_u32_e64 v111, s[0:1], v25, v9, s[0:1]
	v_lshlrev_b64 v[8:9], 4, v[11:12]
	v_mad_u64_u32 v[10:11], s[0:1], s3, v15, v[10:11]
	v_add_co_u32_e64 v112, s[0:1], v24, v8
	v_mov_b32_e32 v14, v10
	v_addc_co_u32_e64 v113, s[0:1], v25, v9, s[0:1]
	v_lshlrev_b64 v[8:9], 4, v[13:14]
	v_add_co_u32_e64 v114, s[0:1], v24, v8
	v_addc_co_u32_e64 v115, s[0:1], v25, v9, s[0:1]
	global_load_dwordx4 v[76:79], v[0:1], off
	global_load_dwordx4 v[52:55], v[2:3], off
	;; [unrolled: 1-line block ×15, first 2 shown]
                                        ; kill: killed $vgpr2 killed $vgpr3
                                        ; kill: killed $vgpr16 killed $vgpr17
                                        ; kill: killed $vgpr98 killed $vgpr99
                                        ; kill: killed $vgpr18 killed $vgpr19
                                        ; kill: killed $vgpr104 killed $vgpr105
                                        ; kill: killed $vgpr0 killed $vgpr1
                                        ; kill: killed $vgpr20 killed $vgpr21
                                        ; kill: killed $vgpr6 killed $vgpr7
                                        ; kill: killed $vgpr96 killed $vgpr97
                                        ; kill: killed $vgpr22 killed $vgpr23
                                        ; kill: killed $vgpr102 killed $vgpr103
                                        ; kill: killed $vgpr36 killed $vgpr37
                                        ; kill: killed $vgpr4 killed $vgpr5
                                        ; kill: killed $vgpr38 killed $vgpr39
                                        ; kill: killed $vgpr100 killed $vgpr101
	global_load_dwordx4 v[16:19], v[106:107], off
	global_load_dwordx4 v[36:39], v[108:109], off
	;; [unrolled: 1-line block ×5, first 2 shown]
.LBB0_13:
	s_or_b64 exec, exec, s[4:5]
	s_waitcnt vmcnt(13)
	v_add_f64 v[98:99], v[68:69], v[72:73]
	s_waitcnt vmcnt(11)
	v_add_f64 v[100:101], v[62:63], -v[66:67]
	v_add_f64 v[102:103], v[60:61], v[64:65]
	s_mov_b32 s0, 0x134454ff
	s_mov_b32 s1, 0xbfee6f0e
	;; [unrolled: 1-line block ×4, first 2 shown]
	v_add_f64 v[96:97], v[60:61], v[76:77]
	v_fma_f64 v[98:99], v[98:99], -0.5, v[76:77]
	v_add_f64 v[104:105], v[74:75], -v[70:71]
	v_add_f64 v[106:107], v[60:61], -v[72:73]
	;; [unrolled: 1-line block ×3, first 2 shown]
	v_fma_f64 v[76:77], v[102:103], -0.5, v[76:77]
	v_add_f64 v[110:111], v[72:73], -v[60:61]
	v_add_f64 v[112:113], v[68:69], -v[64:65]
	s_mov_b32 s14, 0x4755a5e
	v_fma_f64 v[102:103], v[100:101], s[0:1], v[98:99]
	v_fma_f64 v[98:99], v[100:101], s[4:5], v[98:99]
	s_mov_b32 s15, 0xbfe2cf23
	s_mov_b32 s7, 0x3fe2cf23
	;; [unrolled: 1-line block ×3, first 2 shown]
	v_add_f64 v[96:97], v[72:73], v[96:97]
	v_add_f64 v[106:107], v[108:109], v[106:107]
	v_fma_f64 v[108:109], v[104:105], s[4:5], v[76:77]
	v_fma_f64 v[102:103], v[104:105], s[14:15], v[102:103]
	v_add_f64 v[114:115], v[70:71], v[74:75]
	v_fma_f64 v[98:99], v[104:105], s[6:7], v[98:99]
	v_fma_f64 v[76:77], v[104:105], s[0:1], v[76:77]
	v_add_f64 v[104:105], v[62:63], v[78:79]
	v_add_f64 v[110:111], v[112:113], v[110:111]
	;; [unrolled: 1-line block ×4, first 2 shown]
	v_fma_f64 v[108:109], v[100:101], s[14:15], v[108:109]
	v_fma_f64 v[114:115], v[114:115], -0.5, v[78:79]
	v_add_f64 v[60:61], v[60:61], -v[64:65]
	v_fma_f64 v[76:77], v[100:101], s[6:7], v[76:77]
	v_add_f64 v[100:101], v[74:75], v[104:105]
	v_add_f64 v[68:69], v[72:73], -v[68:69]
	v_fma_f64 v[72:73], v[112:113], -0.5, v[78:79]
	s_mov_b32 s10, 0x372fe950
	s_mov_b32 s11, 0x3fd3c6ef
	v_add_f64 v[96:97], v[64:65], v[96:97]
	v_fma_f64 v[64:65], v[106:107], s[10:11], v[102:103]
	v_fma_f64 v[98:99], v[106:107], s[10:11], v[98:99]
	;; [unrolled: 1-line block ×4, first 2 shown]
	v_add_f64 v[104:105], v[62:63], -v[74:75]
	v_add_f64 v[106:107], v[66:67], -v[70:71]
	v_fma_f64 v[76:77], v[110:111], s[10:11], v[76:77]
	v_add_f64 v[100:101], v[70:71], v[100:101]
	v_fma_f64 v[108:109], v[60:61], s[0:1], v[114:115]
	v_fma_f64 v[110:111], v[68:69], s[0:1], v[72:73]
	v_add_f64 v[62:63], v[74:75], -v[62:63]
	v_add_f64 v[70:71], v[70:71], -v[66:67]
	v_fma_f64 v[72:73], v[68:69], s[4:5], v[72:73]
	v_fma_f64 v[74:75], v[68:69], s[6:7], v[102:103]
	v_add_f64 v[102:103], v[106:107], v[104:105]
	v_add_f64 v[104:105], v[52:53], v[56:57]
	;; [unrolled: 1-line block ×3, first 2 shown]
	v_fma_f64 v[68:69], v[68:69], s[14:15], v[108:109]
	v_fma_f64 v[108:109], v[60:61], s[6:7], v[110:111]
	v_add_f64 v[62:63], v[70:71], v[62:63]
	v_fma_f64 v[60:61], v[60:61], s[14:15], v[72:73]
	v_add_f64 v[100:101], v[66:67], v[100:101]
	;; [unrolled: 2-line block ×3, first 2 shown]
	v_fma_f64 v[70:71], v[106:107], -0.5, v[52:53]
	s_waitcnt vmcnt(10)
	v_add_f64 v[72:73], v[58:59], -v[42:43]
	v_fma_f64 v[102:103], v[102:103], s[10:11], v[68:69]
	v_fma_f64 v[104:105], v[62:63], s[10:11], v[108:109]
	v_add_f64 v[68:69], v[56:57], -v[48:49]
	v_add_f64 v[106:107], v[40:41], -v[44:45]
	v_fma_f64 v[108:109], v[62:63], s[10:11], v[60:61]
	v_add_f64 v[62:63], v[50:51], v[46:47]
	v_add_f64 v[110:111], v[40:41], v[56:57]
	;; [unrolled: 1-line block ×4, first 2 shown]
	v_fma_f64 v[66:67], v[72:73], s[0:1], v[70:71]
	v_add_f64 v[112:113], v[50:51], -v[46:47]
	v_add_f64 v[68:69], v[106:107], v[68:69]
	v_add_f64 v[106:107], v[54:55], v[58:59]
	v_fma_f64 v[70:71], v[72:73], s[4:5], v[70:71]
	v_fma_f64 v[62:63], v[62:63], -0.5, v[54:55]
	v_add_f64 v[116:117], v[56:57], -v[40:41]
	v_fma_f64 v[52:53], v[110:111], -0.5, v[52:53]
	v_add_f64 v[56:57], v[48:49], -v[56:57]
	v_fma_f64 v[54:55], v[114:115], -0.5, v[54:55]
	v_add_f64 v[110:111], v[44:45], -v[40:41]
	v_add_f64 v[44:45], v[48:49], -v[44:45]
	v_add_f64 v[106:107], v[50:51], v[106:107]
	v_add_f64 v[114:115], v[58:59], -v[50:51]
	v_add_f64 v[50:51], v[50:51], -v[58:59]
	v_fma_f64 v[58:59], v[116:117], s[4:5], v[62:63]
	v_add_f64 v[48:49], v[42:43], -v[46:47]
	v_add_f64 v[118:119], v[40:41], v[60:61]
	v_fma_f64 v[40:41], v[112:113], s[14:15], v[66:67]
	v_fma_f64 v[60:61], v[112:113], s[6:7], v[70:71]
	v_add_f64 v[56:57], v[110:111], v[56:57]
	v_fma_f64 v[66:67], v[112:113], s[4:5], v[52:53]
	v_fma_f64 v[70:71], v[44:45], s[0:1], v[54:55]
	v_add_f64 v[110:111], v[46:47], -v[42:43]
	v_fma_f64 v[54:55], v[44:45], s[4:5], v[54:55]
	v_fma_f64 v[52:53], v[112:113], s[0:1], v[52:53]
	;; [unrolled: 1-line block ×3, first 2 shown]
	v_add_f64 v[48:49], v[48:49], v[114:115]
	v_fma_f64 v[112:113], v[68:69], s[10:11], v[40:41]
	v_fma_f64 v[40:41], v[116:117], s[0:1], v[62:63]
	;; [unrolled: 1-line block ×4, first 2 shown]
	v_add_f64 v[50:51], v[110:111], v[50:51]
	v_fma_f64 v[54:55], v[116:117], s[14:15], v[54:55]
	v_fma_f64 v[52:53], v[72:73], s[6:7], v[52:53]
	;; [unrolled: 1-line block ×3, first 2 shown]
	v_add_f64 v[46:47], v[46:47], v[106:107]
	v_fma_f64 v[40:41], v[44:45], s[14:15], v[40:41]
	v_fma_f64 v[44:45], v[68:69], s[10:11], v[60:61]
	;; [unrolled: 1-line block ×6, first 2 shown]
	v_mul_f64 v[56:57], v[58:59], s[14:15]
	v_add_f64 v[72:73], v[42:43], v[46:47]
	v_fma_f64 v[42:43], v[48:49], s[10:11], v[40:41]
	s_mov_b32 s16, 0x9b97f4a8
	s_mov_b32 s17, 0x3fe9e377
	;; [unrolled: 1-line block ×3, first 2 shown]
	v_mul_f64 v[48:49], v[50:51], s[0:1]
	s_mov_b32 s18, s10
	s_mov_b32 s21, 0xbfe9e377
	s_mov_b32 s20, s16
	v_fma_f64 v[66:67], v[112:113], s[16:17], v[56:57]
	v_mul_f64 v[46:47], v[62:63], s[0:1]
	v_mul_f64 v[54:55], v[42:43], s[14:15]
	;; [unrolled: 1-line block ×6, first 2 shown]
	v_fma_f64 v[106:107], v[52:53], s[18:19], v[48:49]
	v_add_f64 v[40:41], v[118:119], v[96:97]
	v_fma_f64 v[70:71], v[60:61], s[10:11], v[46:47]
	v_fma_f64 v[110:111], v[44:45], s[20:21], v[54:55]
	;; [unrolled: 1-line block ×6, first 2 shown]
	v_add_f64 v[46:47], v[76:77], v[106:107]
	v_add_f64 v[50:51], v[96:97], -v[118:119]
	s_waitcnt vmcnt(3)
	v_add_f64 v[118:119], v[24:25], v[36:37]
	v_add_f64 v[68:69], v[76:77], -v[106:107]
	s_waitcnt vmcnt(1)
	v_add_f64 v[76:77], v[20:21], v[32:33]
	v_add_f64 v[42:43], v[64:65], v[66:67]
	;; [unrolled: 1-line block ×8, first 2 shown]
	v_add_f64 v[64:65], v[64:65], -v[66:67]
	v_add_f64 v[66:67], v[78:79], -v[70:71]
	;; [unrolled: 1-line block ×4, first 2 shown]
	v_fma_f64 v[98:99], v[118:119], -0.5, v[28:29]
	v_add_f64 v[100:101], v[34:35], -v[22:23]
	v_add_f64 v[72:73], v[74:75], -v[112:113]
	;; [unrolled: 1-line block ×4, first 2 shown]
	v_fma_f64 v[28:29], v[76:77], -0.5, v[28:29]
	v_add_f64 v[60:61], v[102:103], v[120:121]
	v_add_f64 v[96:97], v[24:25], v[96:97]
	v_add_f64 v[78:79], v[102:103], -v[120:121]
	v_fma_f64 v[102:103], v[100:101], s[0:1], v[98:99]
	v_fma_f64 v[98:99], v[100:101], s[4:5], v[98:99]
	v_add_f64 v[58:59], v[108:109], v[116:117]
	v_add_f64 v[76:77], v[108:109], -v[116:117]
	v_fma_f64 v[110:111], v[104:105], s[4:5], v[28:29]
	v_add_f64 v[106:107], v[32:33], -v[24:25]
	v_add_f64 v[96:97], v[36:37], v[96:97]
	v_add_f64 v[108:109], v[20:21], -v[36:37]
	v_add_f64 v[112:113], v[24:25], -v[32:33]
	;; [unrolled: 1-line block ×3, first 2 shown]
	v_fma_f64 v[28:29], v[104:105], s[0:1], v[28:29]
	v_fma_f64 v[102:103], v[104:105], s[14:15], v[102:103]
	v_add_f64 v[116:117], v[26:27], v[38:39]
	v_fma_f64 v[98:99], v[104:105], s[6:7], v[98:99]
	v_fma_f64 v[104:105], v[100:101], s[14:15], v[110:111]
	v_add_f64 v[110:111], v[22:23], v[34:35]
	v_add_f64 v[96:97], v[20:21], v[96:97]
	;; [unrolled: 1-line block ×4, first 2 shown]
	v_fma_f64 v[28:29], v[100:101], s[6:7], v[28:29]
	v_add_f64 v[100:101], v[30:31], v[34:35]
	v_fma_f64 v[112:113], v[116:117], -0.5, v[30:31]
	v_add_f64 v[20:21], v[32:33], -v[20:21]
	v_add_f64 v[24:25], v[24:25], -v[36:37]
	v_fma_f64 v[30:31], v[110:111], -0.5, v[30:31]
	v_fma_f64 v[32:33], v[106:107], s[10:11], v[102:103]
	v_fma_f64 v[98:99], v[106:107], s[10:11], v[98:99]
	;; [unrolled: 1-line block ×4, first 2 shown]
	v_add_f64 v[100:101], v[26:27], v[100:101]
	v_fma_f64 v[102:103], v[20:21], s[4:5], v[112:113]
	v_add_f64 v[104:105], v[34:35], -v[26:27]
	v_add_f64 v[106:107], v[22:23], -v[38:39]
	v_fma_f64 v[108:109], v[20:21], s[0:1], v[112:113]
	v_fma_f64 v[110:111], v[24:25], s[0:1], v[30:31]
	v_add_f64 v[26:27], v[26:27], -v[34:35]
	v_add_f64 v[34:35], v[38:39], -v[22:23]
	v_fma_f64 v[30:31], v[24:25], s[4:5], v[30:31]
	v_add_f64 v[112:113], v[4:5], v[16:17]
	v_add_f64 v[38:39], v[38:39], v[100:101]
	v_fma_f64 v[100:101], v[24:25], s[6:7], v[102:103]
	v_add_f64 v[102:103], v[106:107], v[104:105]
	v_fma_f64 v[24:25], v[24:25], s[14:15], v[108:109]
	v_fma_f64 v[104:105], v[20:21], s[6:7], v[110:111]
	v_add_f64 v[26:27], v[34:35], v[26:27]
	v_fma_f64 v[20:21], v[20:21], s[14:15], v[30:31]
	v_add_f64 v[106:107], v[12:13], -v[16:17]
	s_waitcnt vmcnt(0)
	v_add_f64 v[108:109], v[0:1], -v[4:5]
	v_fma_f64 v[30:31], v[112:113], -0.5, v[8:9]
	v_add_f64 v[112:113], v[6:7], v[18:19]
	v_add_f64 v[34:35], v[14:15], -v[2:3]
	v_fma_f64 v[100:101], v[102:103], s[10:11], v[100:101]
	v_fma_f64 v[102:103], v[102:103], s[10:11], v[24:25]
	v_fma_f64 v[104:105], v[26:27], s[10:11], v[104:105]
	v_fma_f64 v[110:111], v[26:27], s[10:11], v[20:21]
	v_add_f64 v[20:21], v[12:13], v[8:9]
	v_add_f64 v[24:25], v[108:109], v[106:107]
	;; [unrolled: 1-line block ×5, first 2 shown]
	v_add_f64 v[106:107], v[16:17], -v[12:13]
	v_add_f64 v[12:13], v[12:13], -v[0:1]
	v_fma_f64 v[112:113], v[112:113], -0.5, v[10:11]
	v_add_f64 v[38:39], v[22:23], v[38:39]
	v_fma_f64 v[22:23], v[34:35], s[0:1], v[30:31]
	v_add_f64 v[114:115], v[14:15], -v[18:19]
	v_add_f64 v[14:15], v[18:19], -v[14:15]
	;; [unrolled: 1-line block ×3, first 2 shown]
	v_add_f64 v[20:21], v[16:17], v[20:21]
	v_fma_f64 v[30:31], v[34:35], s[4:5], v[30:31]
	v_fma_f64 v[8:9], v[26:27], -0.5, v[8:9]
	v_add_f64 v[18:19], v[18:19], v[108:109]
	v_add_f64 v[16:17], v[16:17], -v[4:5]
	v_fma_f64 v[10:11], v[116:117], -0.5, v[10:11]
	v_add_f64 v[108:109], v[2:3], -v[6:7]
	v_fma_f64 v[26:27], v[12:13], s[4:5], v[112:113]
	v_fma_f64 v[22:23], v[118:119], s[14:15], v[22:23]
	;; [unrolled: 1-line block ×5, first 2 shown]
	v_add_f64 v[118:119], v[6:7], -v[2:3]
	v_add_f64 v[20:21], v[4:5], v[20:21]
	v_add_f64 v[108:109], v[108:109], v[114:115]
	v_fma_f64 v[114:115], v[16:17], s[0:1], v[10:11]
	v_fma_f64 v[10:11], v[16:17], s[4:5], v[10:11]
	;; [unrolled: 1-line block ×4, first 2 shown]
	v_add_f64 v[4:5], v[4:5], -v[0:1]
	v_add_f64 v[14:15], v[118:119], v[14:15]
	v_add_f64 v[118:119], v[0:1], v[20:21]
	v_fma_f64 v[20:21], v[24:25], s[10:11], v[22:23]
	v_fma_f64 v[22:23], v[12:13], s[6:7], v[114:115]
	;; [unrolled: 1-line block ×6, first 2 shown]
	v_add_f64 v[4:5], v[4:5], v[106:107]
	v_fma_f64 v[8:9], v[34:35], s[6:7], v[8:9]
	v_add_f64 v[6:7], v[6:7], v[18:19]
	v_fma_f64 v[22:23], v[14:15], s[10:11], v[22:23]
	v_fma_f64 v[10:11], v[14:15], s[10:11], v[10:11]
	;; [unrolled: 1-line block ×3, first 2 shown]
	v_mul_f64 v[14:15], v[16:17], s[14:15]
	v_fma_f64 v[18:19], v[24:25], s[10:11], v[30:31]
	v_fma_f64 v[24:25], v[4:5], s[10:11], v[0:1]
	;; [unrolled: 1-line block ×3, first 2 shown]
	v_add_f64 v[34:35], v[2:3], v[6:7]
	v_mul_f64 v[2:3], v[22:23], s[0:1]
	v_mul_f64 v[6:7], v[10:11], s[0:1]
	;; [unrolled: 1-line block ×3, first 2 shown]
	v_fma_f64 v[14:15], v[20:21], s[16:17], v[14:15]
	v_mul_f64 v[20:21], v[20:21], s[6:7]
	v_mul_f64 v[26:27], v[24:25], s[4:5]
	v_mul_f64 v[10:11], v[10:11], s[18:19]
	v_mul_f64 v[12:13], v[12:13], s[20:21]
	v_fma_f64 v[30:31], v[24:25], s[10:11], v[2:3]
	v_fma_f64 v[106:107], v[4:5], s[18:19], v[6:7]
	;; [unrolled: 1-line block ×3, first 2 shown]
	v_add_f64 v[0:1], v[96:97], v[118:119]
	v_fma_f64 v[16:17], v[16:17], s[16:17], v[20:21]
	v_fma_f64 v[112:113], v[22:23], s[10:11], v[26:27]
	;; [unrolled: 1-line block ×3, first 2 shown]
	v_add_f64 v[2:3], v[32:33], v[14:15]
	v_fma_f64 v[116:117], v[18:19], s[6:7], v[12:13]
	v_add_f64 v[4:5], v[36:37], v[30:31]
	v_add_f64 v[6:7], v[28:29], v[106:107]
	;; [unrolled: 1-line block ×3, first 2 shown]
	v_add_f64 v[10:11], v[96:97], -v[118:119]
	v_add_f64 v[12:13], v[32:33], -v[14:15]
	;; [unrolled: 1-line block ×3, first 2 shown]
	v_add_f64 v[18:19], v[38:39], v[34:35]
	v_add_f64 v[20:21], v[100:101], v[16:17]
	v_add_f64 v[30:31], v[28:29], -v[106:107]
	v_add_f64 v[32:33], v[98:99], -v[108:109]
	;; [unrolled: 1-line block ×4, first 2 shown]
	v_mul_u32_u24_e32 v16, 10, v80
	v_lshl_add_u32 v81, v16, 3, 0
	v_mul_i32_i24_e32 v16, 10, v87
	ds_write_b128 v81, v[40:43]
	ds_write_b128 v81, v[44:47] offset:16
	ds_write_b128 v81, v[48:51] offset:32
	;; [unrolled: 1-line block ×4, first 2 shown]
	v_lshl_add_u32 v42, v16, 3, 0
	s_movk_i32 s22, 0xffb8
	v_add_f64 v[22:23], v[104:105], v[112:113]
	v_add_f64 v[24:25], v[110:111], v[114:115]
	v_mad_i32_i24 v43, v80, s22, v81
	v_mad_i32_i24 v48, v87, s22, v42
	s_mov_b32 s22, 0xcccd
	v_add_f64 v[26:27], v[102:103], v[116:117]
	v_add_f64 v[98:99], v[102:103], -v[116:117]
	ds_write_b128 v42, v[0:3]
	ds_write_b128 v42, v[4:7] offset:16
	ds_write_b128 v42, v[8:11] offset:32
	;; [unrolled: 1-line block ×4, first 2 shown]
	v_lshl_add_u32 v45, v91, 3, 0
	v_add_u32_e32 v86, 0x3000, v43
	v_add_u32_e32 v89, 0x3c00, v43
	;; [unrolled: 1-line block ×6, first 2 shown]
	v_mul_u32_u24_sdwa v14, v87, s22 dst_sel:DWORD dst_unused:UNUSED_PAD src0_sel:WORD_0 src1_sel:DWORD
	v_add_f64 v[36:37], v[104:105], -v[112:113]
	v_add_f64 v[96:97], v[110:111], -v[114:115]
	s_waitcnt lgkmcnt(0)
	s_barrier
	v_lshl_add_u32 v47, v84, 3, 0
	v_lshl_add_u32 v44, v85, 3, 0
	;; [unrolled: 1-line block ×3, first 2 shown]
	ds_read_b64 v[6:7], v43
	ds_read_b64 v[16:17], v47
	;; [unrolled: 1-line block ×4, first 2 shown]
	ds_read2_b64 v[38:41], v86 offset0:64 offset1:224
	ds_read2_b64 v[64:67], v89 offset1:160
	ds_read2_b64 v[68:71], v92 offset0:64 offset1:224
	ds_read2_b64 v[100:103], v122 offset1:160
	ds_read2_b64 v[0:3], v32 offset0:64 offset1:224
	ds_read_b64 v[12:13], v45
	ds_read_b64 v[4:5], v48
	ds_read2st64_b64 v[104:107], v116 offset0:7 offset1:12
	ds_read2st64_b64 v[108:111], v116 offset0:17 offset1:22
	s_waitcnt lgkmcnt(0)
	s_barrier
	ds_write_b128 v81, v[52:55]
	ds_write_b128 v81, v[56:59] offset:16
	ds_write_b128 v81, v[60:63] offset:32
	;; [unrolled: 1-line block ×4, first 2 shown]
	ds_write_b128 v42, v[18:21]
	ds_write_b128 v42, v[22:25] offset:16
	ds_write_b128 v42, v[26:29] offset:32
	;; [unrolled: 1-line block ×4, first 2 shown]
	v_lshrrev_b32_e32 v28, 19, v14
	v_mul_lo_u16_e32 v14, 10, v28
	v_sub_u16_e32 v29, v87, v14
	v_mul_u32_u24_e32 v14, 9, v29
	v_lshlrev_b32_e32 v63, 4, v14
	s_waitcnt lgkmcnt(0)
	s_barrier
	global_load_dwordx4 v[18:21], v63, s[8:9]
	global_load_dwordx4 v[22:25], v63, s[8:9] offset:16
	global_load_dwordx4 v[33:36], v63, s[8:9] offset:32
	;; [unrolled: 1-line block ×3, first 2 shown]
	s_movk_i32 s22, 0xcd
	v_mul_lo_u16_sdwa v14, v80, s22 dst_sel:DWORD dst_unused:UNUSED_PAD src0_sel:BYTE_0 src1_sel:DWORD
	v_lshrrev_b16_e32 v30, 11, v14
	v_mul_lo_u16_e32 v14, 10, v30
	v_sub_u16_e32 v31, v80, v14
	v_mov_b32_e32 v14, 9
	v_mul_u32_u24_sdwa v14, v31, v14 dst_sel:DWORD dst_unused:UNUSED_PAD src0_sel:BYTE_0 src1_sel:DWORD
	v_lshlrev_b32_e32 v81, 4, v14
	global_load_dwordx4 v[53:56], v81, s[8:9] offset:64
	global_load_dwordx4 v[57:60], v63, s[8:9] offset:64
	;; [unrolled: 1-line block ×3, first 2 shown]
	ds_read2st64_b64 v[76:79], v116 offset0:7 offset1:12
	global_load_dwordx4 v[96:99], v63, s[8:9] offset:80
	global_load_dwordx4 v[112:115], v81, s[8:9] offset:128
	s_waitcnt vmcnt(8) lgkmcnt(0)
	v_mul_f64 v[14:15], v[76:77], v[20:21]
	v_mul_f64 v[20:21], v[104:105], v[20:21]
	v_fma_f64 v[26:27], v[104:105], v[18:19], v[14:15]
	v_fma_f64 v[14:15], v[76:77], v[18:19], -v[20:21]
	s_waitcnt vmcnt(7)
	v_mul_f64 v[18:19], v[78:79], v[24:25]
	v_mul_f64 v[24:25], v[106:107], v[24:25]
	v_fma_f64 v[104:105], v[106:107], v[22:23], v[18:19]
	v_fma_f64 v[106:107], v[78:79], v[22:23], -v[24:25]
	global_load_dwordx4 v[76:79], v81, s[8:9] offset:96
	ds_read2st64_b64 v[18:21], v116 offset0:17 offset1:22
	s_waitcnt vmcnt(7) lgkmcnt(0)
	v_mul_f64 v[22:23], v[18:19], v[35:36]
	v_mul_f64 v[35:36], v[108:109], v[35:36]
	s_waitcnt vmcnt(6)
	v_mul_f64 v[61:62], v[20:21], v[51:52]
	v_fma_f64 v[24:25], v[108:109], v[33:34], v[22:23]
	v_mul_f64 v[22:23], v[110:111], v[51:52]
	v_fma_f64 v[18:19], v[18:19], v[33:34], -v[35:36]
	v_fma_f64 v[108:109], v[110:111], v[49:50], v[61:62]
	ds_read2_b64 v[33:36], v86 offset0:64 offset1:224
	v_fma_f64 v[110:111], v[20:21], v[49:50], -v[22:23]
	global_load_dwordx4 v[49:52], v63, s[8:9] offset:96
	s_waitcnt vmcnt(6) lgkmcnt(0)
	v_mul_f64 v[20:21], v[33:34], v[55:56]
	v_mul_f64 v[22:23], v[38:39], v[55:56]
	v_fma_f64 v[116:117], v[38:39], v[53:54], v[20:21]
	s_waitcnt vmcnt(5)
	v_mul_f64 v[20:21], v[35:36], v[59:60]
	v_fma_f64 v[118:119], v[33:34], v[53:54], -v[22:23]
	v_mul_f64 v[22:23], v[40:41], v[59:60]
	ds_read2_b64 v[53:56], v89 offset1:160
	v_fma_f64 v[120:121], v[40:41], v[57:58], v[20:21]
	global_load_dwordx4 v[37:40], v81, s[8:9] offset:112
	v_fma_f64 v[20:21], v[35:36], v[57:58], -v[22:23]
	global_load_dwordx4 v[33:36], v63, s[8:9] offset:112
	s_waitcnt vmcnt(6) lgkmcnt(0)
	v_mul_f64 v[22:23], v[53:54], v[74:75]
	v_mul_f64 v[57:58], v[64:65], v[74:75]
	v_fma_f64 v[74:75], v[64:65], v[72:73], v[22:23]
	v_fma_f64 v[72:73], v[53:54], v[72:73], -v[57:58]
	global_load_dwordx4 v[57:60], v81, s[8:9]
	s_waitcnt vmcnt(6)
	v_mul_f64 v[22:23], v[55:56], v[98:99]
	v_mul_f64 v[53:54], v[66:67], v[98:99]
	v_fma_f64 v[65:66], v[66:67], v[96:97], v[22:23]
	v_fma_f64 v[96:97], v[55:56], v[96:97], -v[53:54]
	ds_read2_b64 v[53:56], v92 offset0:64 offset1:224
	s_waitcnt vmcnt(4)
	v_mul_f64 v[61:62], v[68:69], v[78:79]
	s_waitcnt lgkmcnt(0)
	v_mul_f64 v[22:23], v[53:54], v[78:79]
	v_fma_f64 v[53:54], v[53:54], v[76:77], -v[61:62]
	global_load_dwordx4 v[61:64], v63, s[8:9] offset:128
	v_fma_f64 v[67:68], v[68:69], v[76:77], v[22:23]
	s_waitcnt vmcnt(4)
	v_mul_f64 v[22:23], v[55:56], v[51:52]
	v_fma_f64 v[76:77], v[70:71], v[49:50], v[22:23]
	v_mul_f64 v[22:23], v[70:71], v[51:52]
	v_fma_f64 v[22:23], v[55:56], v[49:50], -v[22:23]
	ds_read2_b64 v[49:52], v122 offset1:160
	s_waitcnt vmcnt(3) lgkmcnt(0)
	v_mul_f64 v[55:56], v[49:50], v[39:40]
	v_mul_f64 v[39:40], v[100:101], v[39:40]
	s_waitcnt vmcnt(2)
	v_mul_f64 v[69:70], v[51:52], v[35:36]
	v_mul_f64 v[35:36], v[102:103], v[35:36]
	v_fma_f64 v[55:56], v[100:101], v[37:38], v[55:56]
	v_fma_f64 v[49:50], v[49:50], v[37:38], -v[39:40]
	ds_read_b64 v[37:38], v47
	ds_read_b64 v[78:79], v44
	;; [unrolled: 1-line block ×3, first 2 shown]
	v_fma_f64 v[69:70], v[102:103], v[33:34], v[69:70]
	v_fma_f64 v[51:52], v[51:52], v[33:34], -v[35:36]
	s_waitcnt vmcnt(1) lgkmcnt(2)
	v_mul_f64 v[39:40], v[37:38], v[59:60]
	global_load_dwordx4 v[33:36], v81, s[8:9] offset:16
	ds_read_b64 v[100:101], v43
	v_fma_f64 v[102:103], v[16:17], v[57:58], v[39:40]
	v_mul_f64 v[16:17], v[16:17], v[59:60]
	v_mul_f64 v[59:60], v[0:1], v[114:115]
	v_fma_f64 v[16:17], v[37:38], v[57:58], -v[16:17]
	ds_read2_b64 v[37:40], v32 offset0:64 offset1:224
	s_waitcnt lgkmcnt(0)
	v_mul_f64 v[57:58], v[37:38], v[114:115]
	v_fma_f64 v[59:60], v[37:38], v[112:113], -v[59:60]
	s_waitcnt vmcnt(1)
	v_mul_f64 v[37:38], v[2:3], v[63:64]
	v_fma_f64 v[57:58], v[0:1], v[112:113], v[57:58]
	v_mul_f64 v[0:1], v[39:40], v[63:64]
	v_fma_f64 v[63:64], v[2:3], v[61:62], v[0:1]
	global_load_dwordx4 v[0:3], v81, s[8:9] offset:32
	v_fma_f64 v[61:62], v[39:40], v[61:62], -v[37:38]
	global_load_dwordx4 v[37:40], v81, s[8:9] offset:48
	s_waitcnt vmcnt(2)
	v_mul_f64 v[112:113], v[78:79], v[35:36]
	v_mul_f64 v[35:36], v[10:11], v[35:36]
	v_fma_f64 v[10:11], v[10:11], v[33:34], v[112:113]
	ds_read_b64 v[112:113], v45
	v_fma_f64 v[32:33], v[78:79], v[33:34], -v[35:36]
	ds_read_b64 v[78:79], v48
	s_waitcnt vmcnt(0) lgkmcnt(0)
	s_barrier
	v_mul_f64 v[34:35], v[98:99], v[2:3]
	v_mul_f64 v[2:3], v[8:9], v[2:3]
	;; [unrolled: 1-line block ×3, first 2 shown]
	v_fma_f64 v[34:35], v[8:9], v[0:1], v[34:35]
	v_fma_f64 v[0:1], v[98:99], v[0:1], -v[2:3]
	v_fma_f64 v[8:9], v[12:13], v[37:38], v[114:115]
	v_mul_f64 v[2:3], v[12:13], v[39:40]
	v_add_f64 v[98:99], v[55:56], -v[74:75]
	v_add_f64 v[114:115], v[32:33], -v[49:50]
	;; [unrolled: 1-line block ×3, first 2 shown]
	v_add_f64 v[12:13], v[8:9], v[74:75]
	v_fma_f64 v[2:3], v[112:113], v[37:38], -v[2:3]
	v_add_f64 v[36:37], v[8:9], -v[10:11]
	v_add_f64 v[112:113], v[74:75], -v[55:56]
	v_add_f64 v[38:39], v[39:40], v[98:99]
	v_add_f64 v[40:41], v[10:11], v[55:56]
	v_fma_f64 v[12:13], v[12:13], -0.5, v[6:7]
	v_add_f64 v[36:37], v[36:37], v[112:113]
	v_add_f64 v[112:113], v[2:3], -v[72:73]
	v_fma_f64 v[40:41], v[40:41], -0.5, v[6:7]
	v_add_f64 v[6:7], v[6:7], v[10:11]
	v_fma_f64 v[98:99], v[114:115], s[0:1], v[12:13]
	v_fma_f64 v[12:13], v[114:115], s[4:5], v[12:13]
	v_add_f64 v[10:11], v[10:11], -v[55:56]
	v_fma_f64 v[122:123], v[112:113], s[4:5], v[40:41]
	v_add_f64 v[6:7], v[6:7], v[8:9]
	v_fma_f64 v[40:41], v[112:113], s[0:1], v[40:41]
	v_fma_f64 v[98:99], v[112:113], s[14:15], v[98:99]
	;; [unrolled: 1-line block ×3, first 2 shown]
	v_add_f64 v[8:9], v[8:9], -v[74:75]
	v_fma_f64 v[112:113], v[114:115], s[14:15], v[122:123]
	v_add_f64 v[6:7], v[6:7], v[74:75]
	v_fma_f64 v[40:41], v[114:115], s[6:7], v[40:41]
	v_fma_f64 v[98:99], v[38:39], s[10:11], v[98:99]
	;; [unrolled: 1-line block ×3, first 2 shown]
	v_add_f64 v[74:75], v[32:33], -v[2:3]
	v_add_f64 v[114:115], v[118:119], -v[53:54]
	v_fma_f64 v[38:39], v[36:37], s[10:11], v[112:113]
	v_add_f64 v[112:113], v[2:3], v[72:73]
	v_add_f64 v[6:7], v[6:7], v[55:56]
	;; [unrolled: 1-line block ×3, first 2 shown]
	v_fma_f64 v[36:37], v[36:37], s[10:11], v[40:41]
	v_add_f64 v[40:41], v[100:101], v[32:33]
	v_fma_f64 v[112:113], v[112:113], -0.5, v[100:101]
	v_fma_f64 v[55:56], v[55:56], -0.5, v[100:101]
	v_add_f64 v[100:101], v[49:50], -v[72:73]
	v_add_f64 v[40:41], v[40:41], v[2:3]
	v_add_f64 v[2:3], v[2:3], -v[32:33]
	v_fma_f64 v[32:33], v[8:9], s[0:1], v[55:56]
	v_add_f64 v[74:75], v[74:75], v[100:101]
	v_fma_f64 v[100:101], v[10:11], s[4:5], v[112:113]
	v_add_f64 v[40:41], v[40:41], v[72:73]
	v_add_f64 v[71:72], v[72:73], -v[49:50]
	v_fma_f64 v[55:56], v[8:9], s[4:5], v[55:56]
	v_fma_f64 v[112:113], v[10:11], s[0:1], v[112:113]
	;; [unrolled: 1-line block ×4, first 2 shown]
	v_add_f64 v[40:41], v[40:41], v[49:50]
	v_add_f64 v[2:3], v[2:3], v[71:72]
	v_add_f64 v[71:72], v[34:35], -v[116:117]
	v_fma_f64 v[10:11], v[10:11], s[14:15], v[55:56]
	v_add_f64 v[55:56], v[116:117], v[67:68]
	v_fma_f64 v[8:9], v[8:9], s[14:15], v[112:113]
	v_add_f64 v[112:113], v[0:1], -v[59:60]
	v_fma_f64 v[49:50], v[74:75], s[10:11], v[100:101]
	v_add_f64 v[100:101], v[57:58], -v[67:68]
	v_fma_f64 v[32:33], v[2:3], s[10:11], v[32:33]
	v_fma_f64 v[2:3], v[2:3], s[10:11], v[10:11]
	v_fma_f64 v[10:11], v[55:56], -0.5, v[102:103]
	v_fma_f64 v[8:9], v[74:75], s[10:11], v[8:9]
	v_add_f64 v[55:56], v[116:117], -v[34:35]
	v_add_f64 v[73:74], v[67:68], -v[57:58]
	v_add_f64 v[71:72], v[71:72], v[100:101]
	v_add_f64 v[100:101], v[34:35], v[57:58]
	;; [unrolled: 1-line block ×3, first 2 shown]
	v_fma_f64 v[73:74], v[112:113], s[0:1], v[10:11]
	v_fma_f64 v[100:101], v[100:101], -0.5, v[102:103]
	v_add_f64 v[102:103], v[102:103], v[34:35]
	v_fma_f64 v[10:11], v[112:113], s[4:5], v[10:11]
	v_add_f64 v[34:35], v[34:35], -v[57:58]
	v_fma_f64 v[73:74], v[114:115], s[14:15], v[73:74]
	v_fma_f64 v[122:123], v[114:115], s[4:5], v[100:101]
	v_add_f64 v[102:103], v[102:103], v[116:117]
	v_fma_f64 v[10:11], v[114:115], s[6:7], v[10:11]
	v_fma_f64 v[100:101], v[114:115], s[0:1], v[100:101]
	v_add_f64 v[114:115], v[59:60], -v[53:54]
	v_fma_f64 v[73:74], v[71:72], s[10:11], v[73:74]
	v_add_f64 v[102:103], v[102:103], v[67:68]
	v_fma_f64 v[10:11], v[71:72], s[10:11], v[10:11]
	v_fma_f64 v[100:101], v[112:113], s[6:7], v[100:101]
	v_add_f64 v[102:103], v[102:103], v[57:58]
	v_add_f64 v[57:58], v[116:117], -v[67:68]
	v_add_f64 v[67:68], v[0:1], -v[118:119]
	v_add_f64 v[116:117], v[0:1], v[59:60]
	v_add_f64 v[67:68], v[67:68], v[114:115]
	;; [unrolled: 1-line block ×3, first 2 shown]
	v_fma_f64 v[116:117], v[116:117], -0.5, v[16:17]
	v_fma_f64 v[114:115], v[114:115], -0.5, v[16:17]
	v_add_f64 v[16:17], v[16:17], v[0:1]
	v_add_f64 v[0:1], v[118:119], -v[0:1]
	v_fma_f64 v[124:125], v[34:35], s[4:5], v[114:115]
	v_add_f64 v[16:17], v[16:17], v[118:119]
	v_add_f64 v[118:119], v[53:54], -v[59:60]
	v_fma_f64 v[114:115], v[34:35], s[0:1], v[114:115]
	v_add_f64 v[16:17], v[16:17], v[53:54]
	v_add_f64 v[0:1], v[0:1], v[118:119]
	v_fma_f64 v[118:119], v[57:58], s[0:1], v[116:117]
	v_fma_f64 v[116:117], v[57:58], s[4:5], v[116:117]
	v_add_f64 v[16:17], v[16:17], v[59:60]
	v_fma_f64 v[118:119], v[34:35], s[6:7], v[118:119]
	v_fma_f64 v[34:35], v[34:35], s[14:15], v[116:117]
	;; [unrolled: 1-line block ×5, first 2 shown]
	v_add_f64 v[124:125], v[65:66], -v[69:70]
	v_fma_f64 v[112:113], v[67:68], s[10:11], v[116:117]
	v_fma_f64 v[116:117], v[0:1], s[10:11], v[118:119]
	;; [unrolled: 1-line block ×6, first 2 shown]
	v_add_f64 v[118:119], v[40:41], v[16:17]
	v_add_f64 v[40:41], v[40:41], -v[16:17]
	v_mul_f64 v[53:54], v[112:113], s[14:15]
	v_mul_f64 v[67:68], v[116:117], s[0:1]
	;; [unrolled: 1-line block ×8, first 2 shown]
	v_fma_f64 v[53:54], v[73:74], s[16:17], v[53:54]
	v_fma_f64 v[67:68], v[57:58], s[10:11], v[67:68]
	;; [unrolled: 1-line block ×8, first 2 shown]
	v_add_f64 v[116:117], v[98:99], v[53:54]
	v_add_f64 v[34:35], v[98:99], -v[53:54]
	v_add_f64 v[53:54], v[108:109], v[65:66]
	v_add_f64 v[112:113], v[38:39], v[67:68]
	;; [unrolled: 1-line block ×5, first 2 shown]
	v_add_f64 v[38:39], v[38:39], -v[67:68]
	v_add_f64 v[67:68], v[32:33], v[57:58]
	v_add_f64 v[36:37], v[36:37], -v[71:72]
	v_add_f64 v[12:13], v[12:13], -v[59:60]
	;; [unrolled: 1-line block ×3, first 2 shown]
	v_fma_f64 v[16:17], v[53:54], -0.5, v[4:5]
	v_add_f64 v[49:50], v[106:107], -v[51:52]
	v_add_f64 v[53:54], v[104:105], -v[108:109]
	;; [unrolled: 1-line block ×4, first 2 shown]
	v_add_f64 v[32:33], v[104:105], v[69:70]
	v_add_f64 v[73:74], v[2:3], v[0:1]
	v_add_f64 v[0:1], v[2:3], -v[0:1]
	v_add_f64 v[100:101], v[6:7], v[102:103]
	v_fma_f64 v[2:3], v[49:50], s[0:1], v[16:17]
	v_fma_f64 v[16:17], v[49:50], s[4:5], v[16:17]
	v_add_f64 v[53:54], v[53:54], v[71:72]
	v_add_f64 v[71:72], v[110:111], -v[96:97]
	v_fma_f64 v[32:33], v[32:33], -0.5, v[4:5]
	v_add_f64 v[4:5], v[4:5], v[104:105]
	v_add_f64 v[6:7], v[6:7], -v[102:103]
	v_add_f64 v[102:103], v[8:9], v[10:11]
	v_add_f64 v[9:10], v[8:9], -v[10:11]
	v_mov_b32_e32 v11, 3
	v_mul_u32_u24_e32 v8, 0x320, v30
	v_fma_f64 v[2:3], v[71:72], s[14:15], v[2:3]
	v_fma_f64 v[16:17], v[71:72], s[6:7], v[16:17]
	;; [unrolled: 1-line block ×4, first 2 shown]
	v_add_f64 v[71:72], v[108:109], -v[104:105]
	v_add_f64 v[4:5], v[4:5], v[108:109]
	v_lshlrev_b32_sdwa v11, v11, v31 dst_sel:DWORD dst_unused:UNUSED_PAD src0_sel:DWORD src1_sel:BYTE_0
	v_fma_f64 v[2:3], v[53:54], s[10:11], v[2:3]
	v_fma_f64 v[16:17], v[53:54], s[10:11], v[16:17]
	;; [unrolled: 1-line block ×4, first 2 shown]
	v_add_f64 v[71:72], v[71:72], v[124:125]
	v_add_f64 v[4:5], v[4:5], v[65:66]
	;; [unrolled: 1-line block ×3, first 2 shown]
	v_add_f64 v[65:66], v[108:109], -v[65:66]
	v_add_f64 v[108:109], v[106:107], -v[110:111]
	v_fma_f64 v[49:50], v[71:72], s[10:11], v[122:123]
	v_fma_f64 v[32:33], v[71:72], s[10:11], v[32:33]
	v_add_f64 v[71:72], v[110:111], v[96:97]
	v_add_f64 v[4:5], v[4:5], v[69:70]
	v_add_f64 v[69:70], v[104:105], -v[69:70]
	v_add_f64 v[104:105], v[106:107], v[51:52]
	v_add_f64 v[53:54], v[53:54], v[110:111]
	v_add_f64 v[106:107], v[110:111], -v[106:107]
	v_add_f64 v[122:123], v[20:21], -v[22:23]
	v_fma_f64 v[71:72], v[71:72], -0.5, v[78:79]
	v_fma_f64 v[78:79], v[104:105], -0.5, v[78:79]
	v_add_f64 v[104:105], v[51:52], -v[96:97]
	v_add_f64 v[53:54], v[53:54], v[96:97]
	v_add_f64 v[96:97], v[96:97], -v[51:52]
	v_fma_f64 v[110:111], v[65:66], s[0:1], v[78:79]
	v_add_f64 v[104:105], v[108:109], v[104:105]
	v_fma_f64 v[108:109], v[69:70], s[4:5], v[71:72]
	v_fma_f64 v[71:72], v[69:70], s[0:1], v[71:72]
	;; [unrolled: 1-line block ×3, first 2 shown]
	v_add_f64 v[96:97], v[106:107], v[96:97]
	v_add_f64 v[51:52], v[53:54], v[51:52]
	v_add_f64 v[106:107], v[24:25], -v[120:121]
	v_fma_f64 v[108:109], v[65:66], s[6:7], v[108:109]
	v_fma_f64 v[65:66], v[65:66], s[14:15], v[71:72]
	;; [unrolled: 1-line block ×4, first 2 shown]
	v_add_f64 v[78:79], v[120:121], v[76:77]
	v_add_f64 v[110:111], v[18:19], -v[61:62]
	v_fma_f64 v[53:54], v[104:105], s[10:11], v[108:109]
	v_add_f64 v[108:109], v[63:64], -v[76:77]
	v_fma_f64 v[65:66], v[104:105], s[10:11], v[65:66]
	v_fma_f64 v[71:72], v[96:97], s[10:11], v[71:72]
	v_fma_f64 v[78:79], v[78:79], -0.5, v[26:27]
	v_fma_f64 v[69:70], v[96:97], s[10:11], v[69:70]
	v_add_f64 v[96:97], v[120:121], -v[24:25]
	v_add_f64 v[104:105], v[76:77], -v[63:64]
	v_add_f64 v[106:107], v[106:107], v[108:109]
	v_add_f64 v[108:109], v[24:25], v[63:64]
	;; [unrolled: 1-line block ×3, first 2 shown]
	v_fma_f64 v[104:105], v[110:111], s[0:1], v[78:79]
	v_fma_f64 v[78:79], v[110:111], s[4:5], v[78:79]
	v_fma_f64 v[108:109], v[108:109], -0.5, v[26:27]
	v_add_f64 v[26:27], v[26:27], v[24:25]
	v_add_f64 v[24:25], v[24:25], -v[63:64]
	v_fma_f64 v[104:105], v[122:123], s[14:15], v[104:105]
	v_fma_f64 v[78:79], v[122:123], s[6:7], v[78:79]
	;; [unrolled: 1-line block ×3, first 2 shown]
	v_add_f64 v[26:27], v[26:27], v[120:121]
	v_fma_f64 v[108:109], v[122:123], s[0:1], v[108:109]
	v_add_f64 v[122:123], v[18:19], v[61:62]
	v_fma_f64 v[104:105], v[106:107], s[10:11], v[104:105]
	;; [unrolled: 2-line block ×3, first 2 shown]
	v_fma_f64 v[122:123], v[122:123], -0.5, v[14:15]
	v_add_f64 v[26:27], v[26:27], v[63:64]
	v_add_f64 v[63:64], v[120:121], -v[76:77]
	v_add_f64 v[75:76], v[18:19], -v[20:21]
	v_add_f64 v[120:121], v[61:62], -v[22:23]
	v_add_f64 v[75:76], v[75:76], v[120:121]
	v_add_f64 v[120:121], v[20:21], v[22:23]
	v_fma_f64 v[120:121], v[120:121], -0.5, v[14:15]
	v_add_f64 v[14:15], v[14:15], v[18:19]
	v_add_f64 v[18:19], v[20:21], -v[18:19]
	v_fma_f64 v[126:127], v[24:25], s[4:5], v[120:121]
	v_add_f64 v[14:15], v[14:15], v[20:21]
	v_add_f64 v[20:21], v[22:23], -v[61:62]
	v_fma_f64 v[120:121], v[24:25], s[0:1], v[120:121]
	v_add_f64 v[14:15], v[14:15], v[22:23]
	v_add_f64 v[18:19], v[18:19], v[20:21]
	v_fma_f64 v[20:21], v[63:64], s[0:1], v[122:123]
	v_fma_f64 v[122:123], v[63:64], s[4:5], v[122:123]
	v_add_f64 v[14:15], v[14:15], v[61:62]
	v_fma_f64 v[20:21], v[24:25], s[6:7], v[20:21]
	v_fma_f64 v[24:25], v[24:25], s[14:15], v[122:123]
	;; [unrolled: 1-line block ×12, first 2 shown]
	v_add_f64 v[108:109], v[4:5], v[26:27]
	v_mul_f64 v[77:78], v[20:21], s[0:1]
	v_mul_f64 v[106:107], v[18:19], s[0:1]
	;; [unrolled: 1-line block ×8, first 2 shown]
	v_fma_f64 v[77:78], v[75:76], s[10:11], v[77:78]
	v_fma_f64 v[106:107], v[96:97], s[18:19], v[106:107]
	;; [unrolled: 1-line block ×8, first 2 shown]
	v_add_f64 v[110:111], v[49:50], v[77:78]
	v_add_f64 v[75:76], v[32:33], v[106:107]
	;; [unrolled: 1-line block ×4, first 2 shown]
	v_add_f64 v[4:5], v[4:5], -v[26:27]
	v_add_f64 v[2:3], v[2:3], -v[63:64]
	;; [unrolled: 1-line block ×5, first 2 shown]
	v_add3_u32 v79, 0, v8, v11
	v_add_f64 v[122:123], v[51:52], v[14:15]
	v_add_f64 v[124:125], v[53:54], v[104:105]
	ds_write2_b64 v79, v[100:101], v[116:117] offset1:10
	ds_write2_b64 v79, v[112:113], v[114:115] offset0:20 offset1:30
	ds_write2_b64 v79, v[55:56], v[6:7] offset0:40 offset1:50
	;; [unrolled: 1-line block ×4, first 2 shown]
	v_mul_u32_u24_e32 v6, 0x320, v28
	v_lshlrev_b32_e32 v7, 3, v29
	v_add_f64 v[63:64], v[71:72], v[20:21]
	v_add_f64 v[77:78], v[69:70], v[18:19]
	v_add3_u32 v12, 0, v6, v7
	v_add_f64 v[106:107], v[65:66], v[22:23]
	v_add_f64 v[61:62], v[51:52], -v[14:15]
	v_add_f64 v[104:105], v[53:54], -v[104:105]
	ds_write2_b64 v12, v[108:109], v[120:121] offset1:10
	ds_write2_b64 v12, v[110:111], v[75:76] offset0:20 offset1:30
	ds_write2_b64 v12, v[96:97], v[4:5] offset0:40 offset1:50
	ds_write2_b64 v12, v[2:3], v[24:25] offset0:60 offset1:70
	ds_write2_b64 v12, v[26:27], v[16:17] offset0:80 offset1:90
	v_add_u32_e32 v2, 0x2c00, v43
	v_add_u32_e32 v50, 0x4a00, v43
	;; [unrolled: 1-line block ×6, first 2 shown]
	s_movk_i32 s0, 0x64
	v_add_f64 v[71:72], v[71:72], -v[20:21]
	v_add_f64 v[69:70], v[69:70], -v[18:19]
	;; [unrolled: 1-line block ×3, first 2 shown]
	s_waitcnt lgkmcnt(0)
	s_barrier
	ds_read2st64_b64 v[5:8], v43 offset1:15
	v_lshl_add_u32 v51, v93, 3, 0
	ds_read2_b64 v[13:16], v2 offset0:32 offset1:192
	ds_read2_b64 v[17:20], v50 offset0:32 offset1:192
	;; [unrolled: 1-line block ×5, first 2 shown]
	v_lshl_add_u32 v53, v90, 3, 0
	ds_read_b64 v[96:97], v48
	ds_read_b64 v[100:101], v53
	ds_read2_b64 v[33:36], v52 offset0:32 offset1:192
	ds_read_b64 v[108:109], v51
	ds_read_b64 v[110:111], v44
	ds_read_b64 v[112:113], v47
	ds_read_b64 v[114:115], v43 offset:24320
	s_waitcnt lgkmcnt(0)
	s_barrier
	ds_write2_b64 v79, v[118:119], v[98:99] offset1:10
	ds_write2_b64 v79, v[67:68], v[73:74] offset0:20 offset1:30
	ds_write2_b64 v79, v[102:103], v[40:41] offset0:40 offset1:50
	;; [unrolled: 1-line block ×4, first 2 shown]
	ds_write2_b64 v12, v[122:123], v[124:125] offset1:10
	ds_write2_b64 v12, v[63:64], v[77:78] offset0:20 offset1:30
	ds_write2_b64 v12, v[106:107], v[61:62] offset0:40 offset1:50
	;; [unrolled: 1-line block ×4, first 2 shown]
	v_add_u32_e32 v0, 0xffffff9c, v80
	v_cmp_gt_u32_e64 s[0:1], s0, v80
	v_cndmask_b32_e64 v41, v0, v80, s[0:1]
	v_mul_i32_i24_e32 v3, 3, v41
	v_mov_b32_e32 v4, 0
	v_lshlrev_b64 v[0:1], 4, v[3:4]
	v_mov_b32_e32 v12, s9
	v_add_co_u32_e64 v0, s[0:1], s8, v0
	v_addc_co_u32_e64 v1, s[0:1], v12, v1, s[0:1]
	s_waitcnt lgkmcnt(0)
	s_barrier
	global_load_dwordx4 v[37:40], v[0:1], off offset:1472
	v_lshrrev_b16_e32 v3, 2, v87
	v_mul_u32_u24_e32 v3, 0x147b, v3
	v_lshrrev_b32_e32 v3, 17, v3
	v_mul_lo_u16_e32 v9, 0x64, v3
	v_sub_u16_e32 v79, v87, v9
	v_mul_u32_u24_e32 v9, 3, v79
	v_lshlrev_b32_e32 v9, 4, v9
	global_load_dwordx4 v[55:58], v9, s[8:9] offset:1472
	global_load_dwordx4 v[59:62], v9, s[8:9] offset:1456
	v_lshrrev_b16_e32 v10, 2, v84
	v_mul_u32_u24_e32 v10, 0x147b, v10
	v_lshrrev_b32_e32 v81, 17, v10
	v_mul_lo_u16_e32 v10, 0x64, v81
	v_sub_u16_e32 v86, v84, v10
	v_mul_u32_u24_e32 v10, 3, v86
	v_lshlrev_b32_e32 v89, 4, v10
	global_load_dwordx4 v[63:66], v89, s[8:9] offset:1456
	ds_read2_b64 v[67:70], v50 offset0:32 offset1:192
	global_load_dwordx4 v[71:74], v9, s[8:9] offset:1440
	global_load_dwordx4 v[75:78], v89, s[8:9] offset:1440
	s_movk_i32 s0, 0x63
	v_cmp_lt_u32_e64 s[0:1], s0, v80
	v_mul_u32_u24_e32 v3, 0xc80, v3
	s_movk_i32 s4, 0x1860
	s_waitcnt vmcnt(5) lgkmcnt(0)
	v_mul_f64 v[9:10], v[67:68], v[39:40]
	v_mul_f64 v[39:40], v[17:18], v[39:40]
	s_waitcnt vmcnt(4)
	v_mul_f64 v[98:99], v[69:70], v[57:58]
	v_fma_f64 v[9:10], v[17:18], v[37:38], v[9:10]
	v_fma_f64 v[67:68], v[67:68], v[37:38], -v[39:40]
	global_load_dwordx4 v[37:40], v89, s[8:9] offset:1472
	v_lshrrev_b16_e32 v17, 2, v90
	v_mul_u32_u24_e32 v17, 0x147b, v17
	v_lshrrev_b32_e32 v89, 17, v17
	v_mul_lo_u16_e32 v17, 0x64, v89
	v_sub_u16_e32 v92, v90, v17
	v_mul_u32_u24_e32 v17, 3, v92
	v_lshlrev_b32_e32 v116, 4, v17
	v_fma_f64 v[98:99], v[19:20], v[55:56], v[98:99]
	v_mul_f64 v[57:58], v[19:20], v[57:58]
	global_load_dwordx4 v[17:20], v116, s[8:9] offset:1440
	v_fma_f64 v[69:70], v[69:70], v[55:56], -v[57:58]
	ds_read2_b64 v[55:58], v49 offset0:32 offset1:192
	s_waitcnt vmcnt(5) lgkmcnt(0)
	v_mul_f64 v[102:103], v[55:56], v[61:62]
	v_mul_f64 v[61:62], v[21:22], v[61:62]
	v_fma_f64 v[102:103], v[21:22], v[59:60], v[102:103]
	s_waitcnt vmcnt(4)
	v_mul_f64 v[21:22], v[57:58], v[65:66]
	v_fma_f64 v[59:60], v[55:56], v[59:60], -v[61:62]
	v_mul_f64 v[55:56], v[23:24], v[65:66]
	v_fma_f64 v[61:62], v[23:24], v[63:64], v[21:22]
	ds_read2_b64 v[21:24], v11 offset0:32 offset1:192
	v_fma_f64 v[63:64], v[57:58], v[63:64], -v[55:56]
	ds_read2_b64 v[55:58], v54 offset0:32 offset1:192
	s_waitcnt vmcnt(2) lgkmcnt(1)
	v_mul_f64 v[65:66], v[21:22], v[77:78]
	v_mul_f64 v[77:78], v[25:26], v[77:78]
	v_fma_f64 v[65:66], v[25:26], v[75:76], v[65:66]
	v_fma_f64 v[75:76], v[21:22], v[75:76], -v[77:78]
	s_waitcnt vmcnt(1) lgkmcnt(0)
	v_mul_f64 v[21:22], v[55:56], v[39:40]
	v_mul_f64 v[25:26], v[29:30], v[39:40]
	v_fma_f64 v[77:78], v[29:30], v[37:38], v[21:22]
	v_fma_f64 v[55:56], v[55:56], v[37:38], -v[25:26]
	global_load_dwordx4 v[37:40], v[0:1], off offset:1440
	s_waitcnt vmcnt(1)
	v_mul_f64 v[21:22], v[23:24], v[19:20]
	v_mul_f64 v[25:26], v[27:28], v[19:20]
	v_add_f64 v[55:56], v[75:76], -v[55:56]
	v_fma_f64 v[104:105], v[27:28], v[17:18], v[21:22]
	global_load_dwordx4 v[19:22], v116, s[8:9] offset:1472
	global_load_dwordx4 v[27:30], v[0:1], off offset:1456
	v_fma_f64 v[106:107], v[23:24], v[17:18], -v[25:26]
	global_load_dwordx4 v[23:26], v116, s[8:9] offset:1456
	s_waitcnt vmcnt(2)
	v_mul_f64 v[17:18], v[57:58], v[21:22]
	v_fma_f64 v[116:117], v[31:32], v[19:20], v[17:18]
	v_mul_f64 v[17:18], v[31:32], v[21:22]
	v_fma_f64 v[31:32], v[57:58], v[19:20], -v[17:18]
	ds_read2_b64 v[17:20], v2 offset0:32 offset1:192
	s_waitcnt vmcnt(1) lgkmcnt(0)
	v_mul_f64 v[0:1], v[19:20], v[29:30]
	v_fma_f64 v[0:1], v[15:16], v[27:28], v[0:1]
	v_mul_f64 v[15:16], v[15:16], v[29:30]
	v_add_f64 v[0:1], v[5:6], -v[0:1]
	v_fma_f64 v[57:58], v[19:20], v[27:28], -v[15:16]
	v_lshrrev_b16_e32 v15, 2, v85
	v_mul_u32_u24_e32 v15, 0x147b, v15
	v_lshrrev_b32_e32 v128, 17, v15
	v_mul_lo_u16_e32 v15, 0x64, v128
	v_sub_u16_e32 v129, v85, v15
	v_mul_u32_u24_e32 v15, 3, v129
	v_lshlrev_b32_e32 v130, 4, v15
	global_load_dwordx4 v[19:22], v130, s[8:9] offset:1440
	global_load_dwordx4 v[27:30], v130, s[8:9] offset:1456
	v_fma_f64 v[5:6], v[5:6], 2.0, -v[0:1]
	s_waitcnt vmcnt(1)
	v_mul_f64 v[15:16], v[17:18], v[21:22]
	v_fma_f64 v[118:119], v[13:14], v[19:20], v[15:16]
	v_mul_f64 v[13:14], v[13:14], v[21:22]
	v_fma_f64 v[120:121], v[17:18], v[19:20], -v[13:14]
	v_mul_f64 v[19:20], v[33:34], v[25:26]
	ds_read2_b64 v[13:16], v52 offset0:32 offset1:192
	s_waitcnt lgkmcnt(0)
	v_mul_f64 v[17:18], v[13:14], v[25:26]
	v_fma_f64 v[122:123], v[13:14], v[23:24], -v[19:20]
	s_waitcnt vmcnt(0)
	v_mul_f64 v[13:14], v[15:16], v[29:30]
	v_fma_f64 v[17:18], v[33:34], v[23:24], v[17:18]
	v_fma_f64 v[19:20], v[35:36], v[27:28], v[13:14]
	v_mul_f64 v[13:14], v[35:36], v[29:30]
	v_add_f64 v[17:18], v[100:101], -v[17:18]
	v_add_f64 v[19:20], v[110:111], -v[19:20]
	v_fma_f64 v[124:125], v[15:16], v[27:28], -v[13:14]
	ds_read_b64 v[13:14], v51
	ds_read_b64 v[126:127], v44
	s_waitcnt lgkmcnt(1)
	v_mul_f64 v[15:16], v[13:14], v[39:40]
	v_fma_f64 v[21:22], v[108:109], v[37:38], v[15:16]
	v_mul_f64 v[15:16], v[108:109], v[39:40]
	ds_read_b64 v[25:26], v43 offset:24320
	ds_read_b64 v[108:109], v47
	s_waitcnt lgkmcnt(0)
	v_add_f64 v[63:64], v[108:109], -v[63:64]
	v_fma_f64 v[23:24], v[13:14], v[37:38], -v[15:16]
	global_load_dwordx4 v[13:16], v130, s[8:9] offset:1472
	s_waitcnt vmcnt(0)
	v_mul_f64 v[27:28], v[25:26], v[15:16]
	v_mul_f64 v[15:16], v[114:115], v[15:16]
	v_fma_f64 v[27:28], v[114:115], v[13:14], v[27:28]
	v_fma_f64 v[25:26], v[25:26], v[13:14], -v[15:16]
	ds_read2st64_b64 v[13:16], v43 offset1:15
	s_waitcnt lgkmcnt(0)
	v_mul_f64 v[29:30], v[15:16], v[73:74]
	v_fma_f64 v[29:30], v[7:8], v[71:72], v[29:30]
	v_mul_f64 v[7:8], v[7:8], v[73:74]
	v_fma_f64 v[71:72], v[15:16], v[71:72], -v[7:8]
	v_mov_b32_e32 v7, 0xc80
	v_cndmask_b32_e64 v7, 0, v7, s[0:1]
	v_lshlrev_b32_e32 v8, 3, v41
	v_add3_u32 v41, 0, v7, v8
	v_add_f64 v[7:8], v[21:22], -v[9:10]
	v_add_f64 v[15:16], v[23:24], -v[67:68]
	ds_read_b64 v[67:68], v48
	ds_read_b64 v[73:74], v53
	s_waitcnt lgkmcnt(0)
	s_barrier
	v_add_f64 v[69:70], v[71:72], -v[69:70]
	v_add_u32_e32 v130, 0x400, v41
	v_fma_f64 v[9:10], v[21:22], 2.0, -v[7:8]
	v_add_f64 v[21:22], v[0:1], v[15:16]
	v_add_f64 v[59:60], v[67:68], -v[59:60]
	v_add_f64 v[9:10], v[5:6], -v[9:10]
	v_fma_f64 v[0:1], v[0:1], 2.0, -v[21:22]
	v_fma_f64 v[67:68], v[67:68], 2.0, -v[59:60]
	;; [unrolled: 1-line block ×3, first 2 shown]
	ds_write2_b64 v130, v[9:10], v[21:22] offset0:72 offset1:172
	ds_write2_b64 v41, v[5:6], v[0:1] offset1:100
	v_add_f64 v[0:1], v[13:14], -v[57:58]
	v_add_f64 v[57:58], v[29:30], -v[98:99]
	v_fma_f64 v[5:6], v[13:14], 2.0, -v[0:1]
	v_fma_f64 v[13:14], v[23:24], 2.0, -v[15:16]
	v_add_f64 v[15:16], v[96:97], -v[102:103]
	v_fma_f64 v[29:30], v[29:30], 2.0, -v[57:58]
	v_add_f64 v[98:99], v[0:1], -v[7:8]
	v_add_f64 v[7:8], v[112:113], -v[61:62]
	;; [unrolled: 1-line block ×6, first 2 shown]
	v_fma_f64 v[23:24], v[96:97], 2.0, -v[15:16]
	v_add_f64 v[96:97], v[5:6], -v[13:14]
	v_add_f64 v[9:10], v[15:16], v[69:70]
	v_fma_f64 v[21:22], v[112:113], 2.0, -v[7:8]
	v_add_f64 v[35:36], v[7:8], v[55:56]
	v_fma_f64 v[33:34], v[104:105], 2.0, -v[77:78]
	v_fma_f64 v[69:70], v[71:72], 2.0, -v[69:70]
	;; [unrolled: 1-line block ×3, first 2 shown]
	v_add_f64 v[13:14], v[23:24], -v[29:30]
	v_fma_f64 v[29:30], v[65:66], 2.0, -v[61:62]
	v_add_f64 v[65:66], v[118:119], -v[27:28]
	v_fma_f64 v[27:28], v[100:101], 2.0, -v[17:18]
	v_fma_f64 v[15:16], v[15:16], 2.0, -v[9:10]
	v_add_f64 v[100:101], v[106:107], -v[31:32]
	v_fma_f64 v[31:32], v[110:111], 2.0, -v[19:20]
	v_fma_f64 v[104:105], v[5:6], 2.0, -v[96:97]
	;; [unrolled: 1-line block ×3, first 2 shown]
	v_add_f64 v[29:30], v[21:22], -v[29:30]
	v_fma_f64 v[37:38], v[118:119], 2.0, -v[65:66]
	v_add_f64 v[25:26], v[27:28], -v[33:34]
	v_lshlrev_b32_e32 v33, 3, v79
	v_add3_u32 v3, 0, v3, v33
	v_add_f64 v[33:34], v[19:20], v[102:103]
	v_fma_f64 v[110:111], v[0:1], 2.0, -v[98:99]
	ds_write2_b64 v3, v[23:24], v[15:16] offset1:100
	v_add_f64 v[15:16], v[17:18], v[100:101]
	v_add_f64 v[23:24], v[31:32], -v[37:38]
	v_fma_f64 v[0:1], v[21:22], 2.0, -v[29:30]
	v_fma_f64 v[5:6], v[7:8], 2.0, -v[35:36]
	;; [unrolled: 1-line block ×4, first 2 shown]
	v_add_u32_e32 v79, 0x400, v3
	ds_write2_b64 v79, v[13:14], v[9:10] offset0:72 offset1:172
	v_fma_f64 v[17:18], v[17:18], 2.0, -v[15:16]
	v_fma_f64 v[21:22], v[31:32], 2.0, -v[23:24]
	v_mul_u32_u24_e32 v9, 0xc80, v81
	v_lshlrev_b32_e32 v10, 3, v86
	v_fma_f64 v[71:72], v[106:107], 2.0, -v[100:101]
	v_add_f64 v[100:101], v[73:74], -v[122:123]
	v_add3_u32 v81, 0, v9, v10
	ds_write2_b64 v81, v[0:1], v[5:6] offset1:100
	v_mul_u32_u24_e32 v0, 0xc80, v89
	v_lshlrev_b32_e32 v1, 3, v92
	v_fma_f64 v[75:76], v[120:121], 2.0, -v[102:103]
	v_add_f64 v[102:103], v[126:127], -v[124:125]
	v_add3_u32 v89, 0, v0, v1
	v_mul_u32_u24_e32 v0, 0xc80, v128
	v_lshlrev_b32_e32 v1, 3, v129
	v_add3_u32 v116, 0, v0, v1
	v_add_u32_e32 v86, 0x400, v81
	v_add_u32_e32 v92, 0x400, v89
	;; [unrolled: 1-line block ×3, first 2 shown]
	ds_write2_b64 v86, v[29:30], v[35:36] offset0:72 offset1:172
	ds_write2_b64 v89, v[7:8], v[17:18] offset1:100
	ds_write2_b64 v92, v[25:26], v[15:16] offset0:72 offset1:172
	ds_write2_b64 v116, v[21:22], v[19:20] offset1:100
	ds_write2_b64 v117, v[23:24], v[33:34] offset0:72 offset1:172
	s_waitcnt lgkmcnt(0)
	s_barrier
	ds_read2st64_b64 v[13:16], v43 offset1:15
	ds_read2_b64 v[17:20], v2 offset0:32 offset1:192
	ds_read2_b64 v[21:24], v50 offset0:32 offset1:192
	;; [unrolled: 1-line block ×3, first 2 shown]
	ds_read_b64 v[7:8], v48
	ds_read_b64 v[5:6], v53
	;; [unrolled: 1-line block ×5, first 2 shown]
	ds_read_b64 v[114:115], v43 offset:24320
	ds_read2_b64 v[29:32], v11 offset0:32 offset1:192
	ds_read2_b64 v[33:36], v54 offset0:32 offset1:192
	;; [unrolled: 1-line block ×3, first 2 shown]
	s_waitcnt lgkmcnt(0)
	s_barrier
	ds_write2_b64 v41, v[104:105], v[110:111] offset1:100
	v_fma_f64 v[104:105], v[108:109], 2.0, -v[63:64]
	v_fma_f64 v[73:74], v[73:74], 2.0, -v[100:101]
	;; [unrolled: 1-line block ×3, first 2 shown]
	v_add_f64 v[69:70], v[67:68], -v[69:70]
	v_add_f64 v[61:62], v[63:64], -v[61:62]
	;; [unrolled: 1-line block ×4, first 2 shown]
	v_fma_f64 v[59:60], v[59:60], 2.0, -v[57:58]
	v_add_f64 v[55:56], v[104:105], -v[55:56]
	v_add_f64 v[71:72], v[73:74], -v[71:72]
	;; [unrolled: 1-line block ×3, first 2 shown]
	v_fma_f64 v[67:68], v[67:68], 2.0, -v[69:70]
	v_fma_f64 v[63:64], v[63:64], 2.0, -v[61:62]
	;; [unrolled: 1-line block ×7, first 2 shown]
	ds_write2_b64 v130, v[96:97], v[98:99] offset0:72 offset1:172
	ds_write2_b64 v3, v[67:68], v[59:60] offset1:100
	ds_write2_b64 v79, v[69:70], v[57:58] offset0:72 offset1:172
	ds_write2_b64 v81, v[104:105], v[63:64] offset1:100
	ds_write2_b64 v86, v[55:56], v[61:62] offset0:72 offset1:172
	ds_write2_b64 v89, v[73:74], v[100:101] offset1:100
	ds_write2_b64 v92, v[71:72], v[77:78] offset0:72 offset1:172
	ds_write2_b64 v116, v[106:107], v[102:103] offset1:100
	ds_write2_b64 v117, v[75:76], v[65:66] offset0:72 offset1:172
	v_mul_u32_u24_e32 v3, 3, v80
	v_lshlrev_b32_e32 v3, 4, v3
	v_add_co_u32_e64 v41, s[0:1], s8, v3
	v_addc_co_u32_e64 v79, s[0:1], 0, v12, s[0:1]
	v_mul_i32_i24_e32 v3, 3, v87
	v_add_co_u32_e64 v96, s[0:1], s4, v41
	v_lshlrev_b64 v[59:60], 4, v[3:4]
	v_addc_co_u32_e64 v97, s[0:1], 0, v79, s[0:1]
	v_add_co_u32_e64 v81, s[0:1], s8, v59
	v_addc_co_u32_e64 v86, s[0:1], v12, v60, s[0:1]
	v_add_co_u32_e64 v67, s[0:1], s4, v81
	s_waitcnt lgkmcnt(0)
	s_barrier
	global_load_dwordx4 v[55:58], v[96:97], off offset:32
	v_addc_co_u32_e64 v68, s[0:1], 0, v86, s[0:1]
	global_load_dwordx4 v[59:62], v[67:68], off offset:32
	global_load_dwordx4 v[63:66], v[67:68], off offset:16
	s_movk_i32 s0, 0x50
	v_add_u32_e32 v3, 0xffffffb0, v80
	v_cmp_gt_u32_e64 s[0:1], s0, v80
	v_cndmask_b32_e64 v89, v3, v84, s[0:1]
	v_mul_i32_i24_e32 v3, 3, v89
	v_lshlrev_b64 v[67:68], 4, v[3:4]
	ds_read2_b64 v[75:78], v50 offset0:32 offset1:192
	v_add_co_u32_e64 v3, s[0:1], s8, v67
	v_addc_co_u32_e64 v12, s[0:1], v12, v68, s[0:1]
	v_add_co_u32_e64 v104, s[0:1], s4, v3
	v_addc_co_u32_e64 v105, s[0:1], 0, v12, s[0:1]
	global_load_dwordx4 v[67:70], v[104:105], off offset:16
	s_movk_i32 s4, 0x1000
	v_add_co_u32_e64 v71, s[0:1], s4, v3
	v_addc_co_u32_e64 v72, s[0:1], 0, v12, s[0:1]
	global_load_dwordx4 v[71:74], v[71:72], off offset:2144
	v_add_co_u32_e64 v100, s[0:1], s4, v81
	global_load_dwordx4 v[96:99], v[96:97], off offset:16
	v_addc_co_u32_e64 v101, s[0:1], 0, v86, s[0:1]
	global_load_dwordx4 v[100:103], v[100:101], off offset:2144
	s_waitcnt vmcnt(6) lgkmcnt(0)
	v_mul_f64 v[106:107], v[75:76], v[57:58]
	v_mul_f64 v[57:58], v[21:22], v[57:58]
	s_waitcnt vmcnt(5)
	v_mul_f64 v[108:109], v[77:78], v[61:62]
	v_mul_f64 v[61:62], v[23:24], v[61:62]
	v_fma_f64 v[106:107], v[21:22], v[55:56], v[106:107]
	v_fma_f64 v[75:76], v[75:76], v[55:56], -v[57:58]
	v_fma_f64 v[108:109], v[23:24], v[59:60], v[108:109]
	ds_read2_b64 v[21:24], v49 offset0:32 offset1:192
	v_fma_f64 v[77:78], v[77:78], v[59:60], -v[61:62]
	global_load_dwordx4 v[59:62], v[104:105], off offset:32
	v_add_co_u32_e64 v55, s[0:1], s4, v41
	s_waitcnt vmcnt(5) lgkmcnt(0)
	v_mul_f64 v[110:111], v[21:22], v[65:66]
	v_mul_f64 v[65:66], v[25:26], v[65:66]
	v_addc_co_u32_e64 v56, s[0:1], 0, v79, s[0:1]
	s_waitcnt vmcnt(4)
	v_mul_f64 v[104:105], v[23:24], v[69:70]
	v_mul_f64 v[69:70], v[27:28], v[69:70]
	s_movk_i32 s0, 0x2760
	global_load_dwordx4 v[55:58], v[55:56], off offset:2144
	v_fma_f64 v[110:111], v[25:26], v[63:64], v[110:111]
	v_fma_f64 v[116:117], v[21:22], v[63:64], -v[65:66]
	s_waitcnt vmcnt(4)
	v_mul_f64 v[65:66], v[29:30], v[73:74]
	v_fma_f64 v[104:105], v[27:28], v[67:68], v[104:105]
	ds_read2_b64 v[25:28], v11 offset0:32 offset1:192
	v_add_co_u32_e64 v11, s[0:1], s0, v41
	v_addc_co_u32_e64 v12, s[0:1], 0, v79, s[0:1]
	s_waitcnt lgkmcnt(0)
	v_mul_f64 v[63:64], v[25:26], v[73:74]
	s_movk_i32 s0, 0x2000
	v_add_co_u32_e64 v73, s[0:1], s0, v41
	v_addc_co_u32_e64 v74, s[0:1], 0, v79, s[0:1]
	v_fma_f64 v[118:119], v[23:24], v[67:68], -v[69:70]
	global_load_dwordx4 v[21:24], v[11:12], off offset:16
	v_fma_f64 v[120:121], v[29:30], v[71:72], v[63:64]
	v_fma_f64 v[71:72], v[25:26], v[71:72], -v[65:66]
	global_load_dwordx4 v[63:66], v[73:74], off offset:1888
	global_load_dwordx4 v[67:70], v[11:12], off offset:32
	s_movk_i32 s0, 0x4000
	s_waitcnt vmcnt(5)
	v_mul_f64 v[73:74], v[15:16], v[102:103]
	v_add_f64 v[104:105], v[9:10], -v[104:105]
	v_fma_f64 v[9:10], v[9:10], 2.0, -v[104:105]
	s_waitcnt vmcnt(1)
	v_mul_f64 v[11:12], v[27:28], v[65:66]
	v_mul_f64 v[25:26], v[31:32], v[65:66]
	;; [unrolled: 1-line block ×3, first 2 shown]
	v_fma_f64 v[11:12], v[31:32], v[63:64], v[11:12]
	v_fma_f64 v[63:64], v[27:28], v[63:64], -v[25:26]
	ds_read2_b64 v[25:28], v54 offset0:32 offset1:192
	v_mul_f64 v[31:32], v[33:34], v[61:62]
	s_waitcnt lgkmcnt(0)
	v_mul_f64 v[29:30], v[25:26], v[61:62]
	v_fma_f64 v[33:34], v[33:34], v[59:60], v[29:30]
	v_add_co_u32_e64 v29, s[0:1], s0, v41
	v_addc_co_u32_e64 v30, s[0:1], 0, v79, s[0:1]
	v_fma_f64 v[59:60], v[25:26], v[59:60], -v[31:32]
	global_load_dwordx4 v[29:32], v[29:30], off offset:1376
	s_waitcnt vmcnt(1)
	v_mul_f64 v[25:26], v[27:28], v[69:70]
	s_movk_i32 s0, 0x4560
	v_add_f64 v[33:34], v[120:121], -v[33:34]
	v_add_f64 v[59:60], v[71:72], -v[59:60]
	v_fma_f64 v[61:62], v[35:36], v[67:68], v[25:26]
	v_mul_f64 v[25:26], v[35:36], v[69:70]
	v_fma_f64 v[71:72], v[71:72], 2.0, -v[59:60]
	v_fma_f64 v[35:36], v[27:28], v[67:68], -v[25:26]
	ds_read2_b64 v[25:28], v2 offset0:32 offset1:192
	s_waitcnt lgkmcnt(0)
	v_mul_f64 v[2:3], v[27:28], v[98:99]
	v_fma_f64 v[65:66], v[27:28], v[96:97], -v[65:66]
	ds_read_b64 v[27:28], v51
	v_add_f64 v[35:36], v[63:64], -v[35:36]
	v_fma_f64 v[2:3], v[19:20], v[96:97], v[2:3]
	v_add_co_u32_e64 v96, s[0:1], s0, v41
	v_addc_co_u32_e64 v97, s[0:1], 0, v79, s[0:1]
	s_movk_i32 s0, 0x4f
	v_cmp_lt_u32_e64 s[0:1], s0, v80
	v_add_f64 v[2:3], v[13:14], -v[2:3]
	v_fma_f64 v[13:14], v[13:14], 2.0, -v[2:3]
	s_waitcnt vmcnt(0)
	v_mul_f64 v[67:68], v[25:26], v[31:32]
	v_mul_f64 v[19:20], v[17:18], v[31:32]
	v_fma_f64 v[31:32], v[17:18], v[29:30], v[67:68]
	ds_read_b64 v[67:68], v44
	s_waitcnt lgkmcnt(1)
	v_mul_f64 v[69:70], v[27:28], v[57:58]
	v_fma_f64 v[29:30], v[25:26], v[29:30], -v[19:20]
	ds_read2st64_b64 v[17:20], v43 offset1:15
	v_mul_f64 v[25:26], v[112:113], v[57:58]
	v_fma_f64 v[57:58], v[112:113], v[55:56], v[69:70]
	s_waitcnt lgkmcnt(0)
	v_mul_f64 v[69:70], v[19:20], v[102:103]
	v_fma_f64 v[55:56], v[27:28], v[55:56], -v[25:26]
	ds_read2_b64 v[25:28], v52 offset0:32 offset1:192
	v_fma_f64 v[15:16], v[15:16], v[100:101], v[69:70]
	v_fma_f64 v[69:70], v[19:20], v[100:101], -v[73:74]
	s_waitcnt lgkmcnt(0)
	v_mul_f64 v[19:20], v[25:26], v[23:24]
	v_mul_f64 v[23:24], v[37:38], v[23:24]
	v_add_f64 v[75:76], v[55:56], -v[75:76]
	v_add_f64 v[77:78], v[69:70], -v[77:78]
	v_fma_f64 v[37:38], v[37:38], v[21:22], v[19:20]
	v_fma_f64 v[73:74], v[25:26], v[21:22], -v[23:24]
	global_load_dwordx4 v[19:22], v[96:97], off offset:16
	global_load_dwordx4 v[23:26], v[96:97], off offset:32
	ds_read_b64 v[98:99], v43 offset:24320
	v_fma_f64 v[55:56], v[55:56], 2.0, -v[75:76]
	v_add_f64 v[75:76], v[2:3], v[75:76]
	v_fma_f64 v[69:70], v[69:70], 2.0, -v[77:78]
	v_fma_f64 v[2:3], v[2:3], 2.0, -v[75:76]
	s_waitcnt vmcnt(1)
	v_mul_f64 v[96:97], v[27:28], v[21:22]
	v_mul_f64 v[21:22], v[39:40], v[21:22]
	v_fma_f64 v[96:97], v[39:40], v[19:20], v[96:97]
	v_add_f64 v[39:40], v[17:18], -v[65:66]
	v_fma_f64 v[19:20], v[27:28], v[19:20], -v[21:22]
	ds_read_b64 v[21:22], v47
	s_waitcnt vmcnt(0) lgkmcnt(1)
	v_mul_f64 v[27:28], v[98:99], v[25:26]
	v_mul_f64 v[25:26], v[114:115], v[25:26]
	v_add_f64 v[65:66], v[57:58], -v[106:107]
	v_add_f64 v[106:107], v[15:16], -v[108:109]
	s_waitcnt lgkmcnt(0)
	v_add_f64 v[108:109], v[21:22], -v[118:119]
	v_fma_f64 v[17:18], v[17:18], 2.0, -v[39:40]
	v_add_f64 v[19:20], v[67:68], -v[19:20]
	v_fma_f64 v[27:28], v[114:115], v[23:24], v[27:28]
	v_fma_f64 v[23:24], v[98:99], v[23:24], -v[25:26]
	v_fma_f64 v[57:58], v[57:58], 2.0, -v[65:66]
	v_fma_f64 v[15:16], v[15:16], 2.0, -v[106:107]
	;; [unrolled: 1-line block ×3, first 2 shown]
	v_add_f64 v[100:101], v[17:18], -v[55:56]
	ds_read_b64 v[55:56], v48
	ds_read_b64 v[102:103], v53
	v_add_f64 v[65:66], v[39:40], -v[65:66]
	v_add_f64 v[27:28], v[31:32], -v[27:28]
	v_add_f64 v[23:24], v[29:30], -v[23:24]
	s_waitcnt lgkmcnt(1)
	v_add_f64 v[25:26], v[55:56], -v[116:117]
	v_add_f64 v[57:58], v[13:14], -v[57:58]
	;; [unrolled: 1-line block ×3, first 2 shown]
	v_fma_f64 v[98:99], v[17:18], 2.0, -v[100:101]
	v_add_f64 v[17:18], v[7:8], -v[110:111]
	v_fma_f64 v[112:113], v[39:40], 2.0, -v[65:66]
	v_add_f64 v[39:40], v[0:1], -v[96:97]
	;; [unrolled: 2-line block ×3, first 2 shown]
	v_fma_f64 v[55:56], v[55:56], 2.0, -v[25:26]
	v_fma_f64 v[118:119], v[21:22], 2.0, -v[71:72]
	v_add_f64 v[21:22], v[104:105], v[59:60]
	v_add_f64 v[59:60], v[108:109], -v[33:34]
	s_waitcnt lgkmcnt(0)
	v_add_f64 v[33:34], v[102:103], -v[73:74]
	v_fma_f64 v[7:8], v[7:8], 2.0, -v[17:18]
	v_fma_f64 v[0:1], v[0:1], 2.0, -v[39:40]
	;; [unrolled: 1-line block ×3, first 2 shown]
	v_add_f64 v[25:26], v[5:6], -v[37:38]
	v_add_f64 v[37:38], v[11:12], -v[61:62]
	;; [unrolled: 1-line block ×3, first 2 shown]
	v_fma_f64 v[31:32], v[31:32], 2.0, -v[27:28]
	v_fma_f64 v[61:62], v[63:64], 2.0, -v[35:36]
	v_add_f64 v[110:111], v[9:10], -v[110:111]
	v_add_f64 v[15:16], v[7:8], -v[15:16]
	v_fma_f64 v[29:30], v[29:30], 2.0, -v[23:24]
	v_fma_f64 v[5:6], v[5:6], 2.0, -v[25:26]
	;; [unrolled: 1-line block ×5, first 2 shown]
	v_add_f64 v[35:36], v[25:26], v[35:36]
	v_add_f64 v[31:32], v[0:1], -v[31:32]
	v_add_f64 v[23:24], v[39:40], v[23:24]
	v_add_f64 v[77:78], v[17:18], v[77:78]
	v_fma_f64 v[13:14], v[13:14], 2.0, -v[57:58]
	v_add_f64 v[11:12], v[5:6], -v[11:12]
	v_fma_f64 v[9:10], v[9:10], 2.0, -v[110:111]
	v_add_f64 v[61:62], v[55:56], -v[61:62]
	v_fma_f64 v[7:8], v[7:8], 2.0, -v[15:16]
	v_fma_f64 v[63:64], v[67:68], 2.0, -v[19:20]
	;; [unrolled: 1-line block ×3, first 2 shown]
	v_add_f64 v[96:97], v[33:34], -v[37:38]
	v_add_f64 v[104:105], v[19:20], -v[27:28]
	v_fma_f64 v[5:6], v[5:6], 2.0, -v[11:12]
	v_fma_f64 v[25:26], v[25:26], 2.0, -v[35:36]
	;; [unrolled: 1-line block ×5, first 2 shown]
	s_barrier
	ds_write_b64 v43, v[13:14]
	ds_write_b64 v43, v[2:3] offset:3200
	ds_write_b64 v43, v[57:58] offset:6400
	;; [unrolled: 1-line block ×3, first 2 shown]
	ds_write_b64 v48, v[7:8]
	ds_write_b64 v48, v[17:18] offset:3200
	ds_write_b64 v48, v[15:16] offset:6400
	;; [unrolled: 1-line block ×3, first 2 shown]
	v_mov_b32_e32 v2, 0x3200
	v_cndmask_b32_e64 v2, 0, v2, s[0:1]
	v_lshlrev_b32_e32 v3, 3, v89
	v_fma_f64 v[73:74], v[108:109], 2.0, -v[59:60]
	v_fma_f64 v[108:109], v[55:56], 2.0, -v[61:62]
	v_add3_u32 v56, 0, v2, v3
	v_lshl_add_u32 v2, v80, 3, 0
	ds_write_b64 v56, v[9:10]
	ds_write_b64 v56, v[67:68] offset:3200
	ds_write_b64 v56, v[110:111] offset:6400
	;; [unrolled: 1-line block ×3, first 2 shown]
	v_add_u32_e32 v57, 0x3400, v2
	v_add_u32_e32 v58, 0x4000, v2
	v_add_u32_e32 v67, 0x4c00, v2
	v_add_u32_e32 v68, 0x5800, v2
	v_add_f64 v[102:103], v[63:64], -v[29:30]
	v_fma_f64 v[120:121], v[33:34], 2.0, -v[96:97]
	v_fma_f64 v[122:123], v[19:20], 2.0, -v[104:105]
	ds_write2_b64 v57, v[5:6], v[0:1] offset0:16 offset1:176
	ds_write2_b64 v58, v[25:26], v[27:28] offset0:32 offset1:192
	;; [unrolled: 1-line block ×4, first 2 shown]
	s_waitcnt lgkmcnt(0)
	s_barrier
	ds_read2st64_b64 v[0:3], v43 offset1:25
	ds_read2_b64 v[8:11], v49 offset0:32 offset1:192
	ds_read2_b64 v[12:15], v52 offset0:32 offset1:192
	;; [unrolled: 1-line block ×3, first 2 shown]
	ds_read_b64 v[34:35], v46
	v_lshl_add_u32 v55, v94, 3, 0
	ds_read2_b64 v[20:23], v54 offset0:32 offset1:192
	ds_read_b64 v[36:37], v55
	ds_read_b64 v[28:29], v53
	ds_read_b64 v[30:31], v51
	ds_read_b64 v[38:39], v45
	v_lshl_add_u32 v7, v95, 3, 0
	ds_read_b64 v[24:25], v48
	ds_read_b64 v[40:41], v7
	;; [unrolled: 1-line block ×4, first 2 shown]
	ds_read_b64 v[5:6], v43 offset:24320
	v_fma_f64 v[63:64], v[63:64], 2.0, -v[102:103]
	s_waitcnt lgkmcnt(0)
	s_barrier
	ds_write_b64 v43, v[98:99]
	ds_write_b64 v43, v[112:113] offset:3200
	ds_write_b64 v43, v[100:101] offset:6400
	ds_write_b64 v43, v[65:66] offset:9600
	ds_write_b64 v48, v[114:115]
	ds_write_b64 v48, v[116:117] offset:3200
	ds_write_b64 v48, v[69:70] offset:6400
	ds_write_b64 v48, v[106:107] offset:9600
	ds_write_b64 v56, v[118:119]
	ds_write_b64 v56, v[73:74] offset:3200
	ds_write_b64 v56, v[71:72] offset:6400
	ds_write_b64 v56, v[59:60] offset:9600
	ds_write2_b64 v57, v[108:109], v[63:64] offset0:16 offset1:176
	ds_write2_b64 v58, v[120:121], v[122:123] offset0:32 offset1:192
	;; [unrolled: 1-line block ×4, first 2 shown]
	s_waitcnt lgkmcnt(0)
	s_barrier
	s_and_saveexec_b64 s[0:1], vcc
	s_cbranch_execz .LBB0_15
; %bb.14:
	v_mov_b32_e32 v96, v4
	v_lshlrev_b64 v[56:57], 4, v[95:96]
	v_mov_b32_e32 v48, s9
	v_add_co_u32_e32 v56, vcc, s8, v56
	v_addc_co_u32_e32 v57, vcc, v48, v57, vcc
	v_add_co_u32_e32 v64, vcc, 0x6000, v56
	v_mov_b32_e32 v92, v4
	v_addc_co_u32_e32 v65, vcc, 0, v57, vcc
	v_lshlrev_b64 v[56:57], 4, v[91:92]
	s_movk_i32 s0, 0x6000
	v_add_co_u32_e32 v56, vcc, s8, v56
	v_addc_co_u32_e32 v57, vcc, v48, v57, vcc
	v_add_co_u32_e32 v66, vcc, s0, v56
	ds_read_b64 v[109:110], v43 offset:24320
	v_addc_co_u32_e32 v67, vcc, 0, v57, vcc
	global_load_dwordx4 v[56:59], v[64:65], off offset:864
	global_load_dwordx4 v[60:63], v[66:67], off offset:864
	v_mov_b32_e32 v95, v4
	v_lshlrev_b64 v[64:65], 4, v[94:95]
	v_mov_b32_e32 v89, v4
	v_add_co_u32_e32 v64, vcc, s8, v64
	v_addc_co_u32_e32 v65, vcc, v48, v65, vcc
	v_add_co_u32_e32 v72, vcc, s0, v64
	v_addc_co_u32_e32 v73, vcc, 0, v65, vcc
	v_lshlrev_b64 v[64:65], 4, v[88:89]
	v_mov_b32_e32 v94, v4
	v_add_co_u32_e32 v64, vcc, s8, v64
	v_addc_co_u32_e32 v65, vcc, v48, v65, vcc
	v_add_co_u32_e32 v74, vcc, s0, v64
	v_addc_co_u32_e32 v75, vcc, 0, v65, vcc
	global_load_dwordx4 v[64:67], v[72:73], off offset:864
	global_load_dwordx4 v[68:71], v[74:75], off offset:864
	v_lshlrev_b64 v[72:73], 4, v[93:94]
	v_mov_b32_e32 v86, v4
	v_add_co_u32_e32 v72, vcc, s8, v72
	v_addc_co_u32_e32 v73, vcc, v48, v73, vcc
	v_add_co_u32_e32 v88, vcc, s0, v72
	v_addc_co_u32_e32 v89, vcc, 0, v73, vcc
	v_lshlrev_b64 v[72:73], 4, v[85:86]
	v_mov_b32_e32 v91, v4
	v_add_co_u32_e32 v72, vcc, s8, v72
	v_addc_co_u32_e32 v73, vcc, v48, v73, vcc
	v_add_co_u32_e32 v85, vcc, s0, v72
	v_addc_co_u32_e32 v86, vcc, 0, v73, vcc
	global_load_dwordx4 v[72:75], v[88:89], off offset:864
	global_load_dwordx4 v[76:79], v[85:86], off offset:864
	v_lshlrev_b64 v[85:86], 4, v[90:91]
	v_mov_b32_e32 v88, v4
	v_add_co_u32_e32 v81, vcc, s8, v85
	v_addc_co_u32_e32 v85, vcc, v48, v86, vcc
	v_add_co_u32_e32 v97, vcc, s0, v81
	v_addc_co_u32_e32 v98, vcc, 0, v85, vcc
	v_mov_b32_e32 v85, v4
	v_lshlrev_b64 v[84:85], 4, v[84:85]
	v_add_co_u32_e32 v81, vcc, s8, v84
	v_addc_co_u32_e32 v85, vcc, v48, v85, vcc
	v_add_co_u32_e32 v84, vcc, s0, v81
	v_addc_co_u32_e32 v85, vcc, 0, v85, vcc
	global_load_dwordx4 v[89:92], v[97:98], off offset:864
	global_load_dwordx4 v[93:96], v[84:85], off offset:864
	v_lshlrev_b64 v[84:85], 4, v[87:88]
	ds_read_b64 v[111:112], v47
	v_add_co_u32_e32 v81, vcc, s8, v84
	v_addc_co_u32_e32 v85, vcc, v48, v85, vcc
	v_add_co_u32_e32 v84, vcc, s0, v81
	v_addc_co_u32_e32 v85, vcc, 0, v85, vcc
	v_mov_b32_e32 v81, v4
	global_load_dwordx4 v[97:100], v[84:85], off offset:864
	v_lshlrev_b64 v[84:85], 4, v[80:81]
	v_mul_i32_i24_e32 v81, 0xffffffb8, v87
	v_add_co_u32_e32 v4, vcc, s8, v84
	v_addc_co_u32_e32 v48, vcc, v48, v85, vcc
	v_add_co_u32_e32 v84, vcc, s0, v4
	v_addc_co_u32_e32 v85, vcc, 0, v48, vcc
	global_load_dwordx4 v[101:104], v[84:85], off offset:864
	s_waitcnt vmcnt(9)
	v_mul_f64 v[84:85], v[5:6], v[58:59]
	s_waitcnt lgkmcnt(1)
	v_mul_f64 v[47:48], v[109:110], v[58:59]
	ds_read2_b64 v[105:108], v54 offset0:32 offset1:192
	ds_read_b64 v[58:59], v7
	v_fma_f64 v[84:85], v[56:57], v[109:110], -v[84:85]
	v_fma_f64 v[4:5], v[5:6], v[56:57], v[47:48]
	s_waitcnt vmcnt(8)
	v_mul_f64 v[47:48], v[22:23], v[62:63]
	s_waitcnt lgkmcnt(1)
	v_mul_f64 v[56:57], v[107:108], v[62:63]
	ds_read_b64 v[109:110], v46
	ds_read_b64 v[113:114], v44
	;; [unrolled: 1-line block ×3, first 2 shown]
	s_waitcnt lgkmcnt(3)
	v_add_f64 v[6:7], v[58:59], -v[84:85]
	v_add_f64 v[4:5], v[40:41], -v[4:5]
	v_fma_f64 v[46:47], v[60:61], v[107:108], -v[47:48]
	v_fma_f64 v[22:23], v[22:23], v[60:61], v[56:57]
	s_waitcnt vmcnt(7)
	v_mul_f64 v[60:61], v[20:21], v[66:67]
	v_mul_f64 v[66:67], v[105:106], v[66:67]
	ds_read_b64 v[84:85], v51
	ds_read_b64 v[86:87], v55
	ds_read_b64 v[107:108], v53
	ds_read2_b64 v[53:56], v50 offset0:32 offset1:192
	s_waitcnt lgkmcnt(4)
	v_add_f64 v[46:47], v[62:63], -v[46:47]
	v_add_f64 v[44:45], v[38:39], -v[22:23]
	v_fma_f64 v[50:51], v[64:65], v[105:106], -v[60:61]
	s_waitcnt vmcnt(6)
	v_mul_f64 v[60:61], v[18:19], v[70:71]
	v_fma_f64 v[64:65], v[20:21], v[64:65], v[66:67]
	s_waitcnt lgkmcnt(0)
	v_mul_f64 v[66:67], v[55:56], v[70:71]
	v_fma_f64 v[22:23], v[58:59], 2.0, -v[6:7]
	v_fma_f64 v[20:21], v[40:41], 2.0, -v[4:5]
	;; [unrolled: 1-line block ×3, first 2 shown]
	s_waitcnt vmcnt(5)
	v_mul_f64 v[105:106], v[16:17], v[74:75]
	v_add_f64 v[57:58], v[86:87], -v[50:51]
	v_fma_f64 v[50:51], v[68:69], v[55:56], -v[60:61]
	ds_read2_b64 v[59:62], v52 offset0:32 offset1:192
	v_fma_f64 v[18:19], v[18:19], v[68:69], v[66:67]
	v_mul_f64 v[74:75], v[53:54], v[74:75]
	s_waitcnt vmcnt(4)
	v_mul_f64 v[115:116], v[14:15], v[78:79]
	v_add_f64 v[55:56], v[36:37], -v[64:65]
	s_waitcnt lgkmcnt(0)
	v_mul_f64 v[78:79], v[61:62], v[78:79]
	v_fma_f64 v[69:70], v[86:87], 2.0, -v[57:58]
	v_add_f64 v[65:66], v[109:110], -v[50:51]
	v_fma_f64 v[38:39], v[38:39], 2.0, -v[44:45]
	v_add_f64 v[63:64], v[34:35], -v[18:19]
	v_fma_f64 v[18:19], v[72:73], v[53:54], -v[105:106]
	v_fma_f64 v[50:51], v[16:17], v[72:73], v[74:75]
	v_fma_f64 v[52:53], v[76:77], v[61:62], -v[115:116]
	v_fma_f64 v[61:62], v[14:15], v[76:77], v[78:79]
	v_fma_f64 v[67:68], v[36:37], 2.0, -v[55:56]
	v_fma_f64 v[16:17], v[109:110], 2.0, -v[65:66]
	s_waitcnt vmcnt(3)
	v_mul_f64 v[71:72], v[12:13], v[91:92]
	v_mul_f64 v[73:74], v[59:60], v[91:92]
	v_add_f64 v[36:37], v[84:85], -v[18:19]
	s_waitcnt vmcnt(2)
	v_mul_f64 v[18:19], v[10:11], v[95:96]
	v_fma_f64 v[14:15], v[34:35], 2.0, -v[63:64]
	v_add_f64 v[34:35], v[30:31], -v[50:51]
	v_add_f64 v[50:51], v[32:33], -v[61:62]
	;; [unrolled: 1-line block ×3, first 2 shown]
	v_fma_f64 v[86:87], v[89:90], v[59:60], -v[71:72]
	ds_read2_b64 v[59:62], v49 offset0:32 offset1:192
	v_fma_f64 v[12:13], v[12:13], v[89:90], v[73:74]
	v_fma_f64 v[73:74], v[84:85], 2.0, -v[36:37]
	v_fma_f64 v[71:72], v[30:31], 2.0, -v[34:35]
	s_waitcnt lgkmcnt(0)
	v_fma_f64 v[18:19], v[93:94], v[61:62], -v[18:19]
	v_fma_f64 v[75:76], v[32:33], 2.0, -v[50:51]
	v_add_f64 v[32:33], v[107:108], -v[86:87]
	ds_read2st64_b64 v[84:87], v43 offset1:25
	v_add_f64 v[30:31], v[28:29], -v[12:13]
	s_waitcnt vmcnt(1)
	v_mul_f64 v[88:89], v[59:60], v[99:100]
	v_mul_f64 v[48:49], v[61:62], v[95:96]
	;; [unrolled: 1-line block ×3, first 2 shown]
	v_add_f64 v[12:13], v[111:112], -v[18:19]
	v_fma_f64 v[77:78], v[113:114], 2.0, -v[52:53]
	s_waitcnt vmcnt(0)
	v_mul_f64 v[90:91], v[2:3], v[103:104]
	s_waitcnt lgkmcnt(0)
	v_mul_f64 v[18:19], v[86:87], v[103:104]
	v_fma_f64 v[8:9], v[8:9], v[97:98], v[88:89]
	v_fma_f64 v[10:11], v[10:11], v[93:94], v[48:49]
	v_add_u32_e32 v48, v42, v81
	v_fma_f64 v[42:43], v[97:98], v[59:60], -v[61:62]
	ds_read_b64 v[48:49], v48
	v_fma_f64 v[90:91], v[101:102], v[86:87], -v[90:91]
	v_fma_f64 v[2:3], v[2:3], v[101:102], v[18:19]
	v_fma_f64 v[59:60], v[28:29], 2.0, -v[30:31]
	v_add_f64 v[86:87], v[24:25], -v[8:9]
	v_mad_u64_u32 v[8:9], s[0:1], s2, v80, 0
	s_waitcnt lgkmcnt(0)
	v_add_f64 v[88:89], v[48:49], -v[42:43]
	v_add_u32_e32 v42, 0x640, v80
	v_add_f64 v[92:93], v[84:85], -v[90:91]
	v_add_f64 v[90:91], v[0:1], -v[2:3]
	v_mov_b32_e32 v2, v9
	v_mad_u64_u32 v[18:19], s[0:1], s3, v80, v[2:3]
	v_fma_f64 v[94:95], v[24:25], 2.0, -v[86:87]
	v_add_co_u32_e32 v24, vcc, s12, v82
	v_fma_f64 v[2:3], v[84:85], 2.0, -v[92:93]
	v_fma_f64 v[0:1], v[0:1], 2.0, -v[90:91]
	v_mov_b32_e32 v9, v18
	v_mov_b32_e32 v18, s13
	v_addc_co_u32_e32 v25, vcc, v18, v83, vcc
	v_lshlrev_b64 v[8:9], 4, v[8:9]
	v_mad_u64_u32 v[18:19], s[0:1], s2, v42, 0
	v_add_co_u32_e32 v8, vcc, v24, v8
	v_addc_co_u32_e32 v9, vcc, v25, v9, vcc
	global_store_dwordx4 v[8:9], v[0:3], off
	v_fma_f64 v[96:97], v[48:49], 2.0, -v[88:89]
	v_mov_b32_e32 v0, v19
	v_mad_u64_u32 v[0:1], s[0:1], s3, v42, v[0:1]
	v_add_u32_e32 v3, 0xa0, v80
	v_mad_u64_u32 v[1:2], s[0:1], s2, v3, 0
	v_mov_b32_e32 v19, v0
	v_lshlrev_b64 v[8:9], 4, v[18:19]
	v_mov_b32_e32 v0, v2
	v_mad_u64_u32 v[2:3], s[4:5], s3, v3, v[0:1]
	v_add_co_u32_e32 v8, vcc, v24, v8
	v_addc_co_u32_e32 v9, vcc, v25, v9, vcc
	global_store_dwordx4 v[8:9], v[90:93], off
	v_add_u32_e32 v8, 0x6e0, v80
	v_lshlrev_b64 v[0:1], 4, v[1:2]
	v_mad_u64_u32 v[2:3], s[4:5], s2, v8, 0
	v_add_co_u32_e32 v0, vcc, v24, v0
	v_mad_u64_u32 v[8:9], s[4:5], s3, v8, v[3:4]
	v_add_u32_e32 v9, 0x140, v80
	v_mad_u64_u32 v[18:19], s[4:5], s2, v9, 0
	v_add_f64 v[10:11], v[26:27], -v[10:11]
	v_addc_co_u32_e32 v1, vcc, v25, v1, vcc
	v_mov_b32_e32 v3, v8
	global_store_dwordx4 v[0:1], v[94:97], off
	v_lshlrev_b64 v[0:1], 4, v[2:3]
	v_mov_b32_e32 v2, v19
	v_mad_u64_u32 v[2:3], s[4:5], s3, v9, v[2:3]
	v_add_u32_e32 v8, 0x780, v80
	v_fma_f64 v[28:29], v[111:112], 2.0, -v[12:13]
	v_mov_b32_e32 v19, v2
	v_mad_u64_u32 v[2:3], s[4:5], s2, v8, 0
	v_fma_f64 v[26:27], v[26:27], 2.0, -v[10:11]
	v_add_co_u32_e32 v0, vcc, v24, v0
	v_mad_u64_u32 v[8:9], s[4:5], s3, v8, v[3:4]
	v_addc_co_u32_e32 v1, vcc, v25, v1, vcc
	v_add_u32_e32 v9, 0x1e0, v80
	global_store_dwordx4 v[0:1], v[86:89], off
	v_lshlrev_b64 v[0:1], 4, v[18:19]
	v_mad_u64_u32 v[18:19], s[4:5], s2, v9, 0
	v_add_co_u32_e32 v0, vcc, v24, v0
	v_addc_co_u32_e32 v1, vcc, v25, v1, vcc
	v_mov_b32_e32 v3, v8
	global_store_dwordx4 v[0:1], v[26:29], off
	v_lshlrev_b64 v[0:1], 4, v[2:3]
	v_mov_b32_e32 v2, v19
	v_mad_u64_u32 v[2:3], s[4:5], s3, v9, v[2:3]
	v_add_u32_e32 v8, 0x820, v80
	v_fma_f64 v[61:62], v[107:108], 2.0, -v[32:33]
	v_mov_b32_e32 v19, v2
	v_mad_u64_u32 v[2:3], s[4:5], s2, v8, 0
	v_add_co_u32_e32 v0, vcc, v24, v0
	v_addc_co_u32_e32 v1, vcc, v25, v1, vcc
	global_store_dwordx4 v[0:1], v[10:13], off
	v_mad_u64_u32 v[8:9], s[4:5], s3, v8, v[3:4]
	v_add_u32_e32 v11, 0x280, v80
	v_lshlrev_b64 v[0:1], 4, v[18:19]
	v_mad_u64_u32 v[9:10], s[4:5], s2, v11, 0
	v_add_co_u32_e32 v0, vcc, v24, v0
	v_addc_co_u32_e32 v1, vcc, v25, v1, vcc
	v_mov_b32_e32 v3, v8
	global_store_dwordx4 v[0:1], v[59:62], off
	v_lshlrev_b64 v[0:1], 4, v[2:3]
	v_mov_b32_e32 v2, v10
	v_mad_u64_u32 v[2:3], s[4:5], s3, v11, v[2:3]
	v_add_co_u32_e32 v0, vcc, v24, v0
	v_addc_co_u32_e32 v1, vcc, v25, v1, vcc
	v_mov_b32_e32 v10, v2
	global_store_dwordx4 v[0:1], v[30:33], off
	v_lshlrev_b64 v[0:1], 4, v[9:10]
	v_add_u32_e32 v8, 0x8c0, v80
	v_add_u32_e32 v10, 0x320, v80
	s_mov_b32 s1, 0x51eb851f
	v_mad_u64_u32 v[2:3], s[4:5], s2, v8, 0
	v_mul_hi_u32 v11, v10, s1
	s_movk_i32 s0, 0x640
	v_mad_u64_u32 v[8:9], s[4:5], s3, v8, v[3:4]
	v_lshrrev_b32_e32 v3, 9, v11
	v_mad_u32_u24 v11, v3, s0, v10
	v_mad_u64_u32 v[9:10], s[4:5], s2, v11, 0
	v_add_co_u32_e32 v0, vcc, v24, v0
	v_addc_co_u32_e32 v1, vcc, v25, v1, vcc
	v_mov_b32_e32 v3, v8
	global_store_dwordx4 v[0:1], v[75:78], off
	v_lshlrev_b64 v[0:1], 4, v[2:3]
	v_mov_b32_e32 v2, v10
	v_mad_u64_u32 v[2:3], s[4:5], s3, v11, v[2:3]
	v_add_co_u32_e32 v0, vcc, v24, v0
	v_addc_co_u32_e32 v1, vcc, v25, v1, vcc
	v_mov_b32_e32 v10, v2
	global_store_dwordx4 v[0:1], v[50:53], off
	v_lshlrev_b64 v[0:1], 4, v[9:10]
	v_add_u32_e32 v8, 0x640, v11
	v_add_u32_e32 v10, 0x3c0, v80
	v_mad_u64_u32 v[2:3], s[4:5], s2, v8, 0
	v_mul_hi_u32 v11, v10, s1
	v_add_co_u32_e32 v0, vcc, v24, v0
	v_mad_u64_u32 v[8:9], s[4:5], s3, v8, v[3:4]
	v_lshrrev_b32_e32 v3, 9, v11
	v_mad_u32_u24 v11, v3, s0, v10
	v_mad_u64_u32 v[9:10], s[4:5], s2, v11, 0
	v_addc_co_u32_e32 v1, vcc, v25, v1, vcc
	v_mov_b32_e32 v3, v8
	global_store_dwordx4 v[0:1], v[71:74], off
	v_lshlrev_b64 v[0:1], 4, v[2:3]
	v_mov_b32_e32 v2, v10
	v_mad_u64_u32 v[2:3], s[4:5], s3, v11, v[2:3]
	v_add_u32_e32 v8, 0x640, v11
	v_add_co_u32_e32 v0, vcc, v24, v0
	v_mov_b32_e32 v10, v2
	v_mad_u64_u32 v[2:3], s[4:5], s2, v8, 0
	v_addc_co_u32_e32 v1, vcc, v25, v1, vcc
	global_store_dwordx4 v[0:1], v[34:37], off
	v_lshlrev_b64 v[0:1], 4, v[9:10]
	v_mad_u64_u32 v[8:9], s[4:5], s3, v8, v[3:4]
	v_add_u32_e32 v11, 0x460, v80
	v_mad_u64_u32 v[9:10], s[4:5], s2, v11, 0
	v_add_co_u32_e32 v0, vcc, v24, v0
	v_addc_co_u32_e32 v1, vcc, v25, v1, vcc
	v_mov_b32_e32 v3, v8
	global_store_dwordx4 v[0:1], v[14:17], off
	v_lshlrev_b64 v[0:1], 4, v[2:3]
	v_mov_b32_e32 v2, v10
	v_mad_u64_u32 v[2:3], s[4:5], s3, v11, v[2:3]
	v_add_u32_e32 v8, 0xaa0, v80
	v_add_co_u32_e32 v0, vcc, v24, v0
	v_mov_b32_e32 v10, v2
	v_mad_u64_u32 v[2:3], s[4:5], s2, v8, 0
	v_addc_co_u32_e32 v1, vcc, v25, v1, vcc
	global_store_dwordx4 v[0:1], v[63:66], off
	v_lshlrev_b64 v[0:1], 4, v[9:10]
	v_mad_u64_u32 v[8:9], s[4:5], s3, v8, v[3:4]
	v_or_b32_e32 v11, 0x500, v80
	v_mad_u64_u32 v[9:10], s[4:5], s2, v11, 0
	v_add_co_u32_e32 v0, vcc, v24, v0
	v_addc_co_u32_e32 v1, vcc, v25, v1, vcc
	v_mov_b32_e32 v3, v8
	global_store_dwordx4 v[0:1], v[67:70], off
	v_lshlrev_b64 v[0:1], 4, v[2:3]
	v_mov_b32_e32 v2, v10
	v_mad_u64_u32 v[2:3], s[4:5], s3, v11, v[2:3]
	v_add_u32_e32 v8, 0xb40, v80
	v_add_co_u32_e32 v0, vcc, v24, v0
	v_mov_b32_e32 v10, v2
	v_mad_u64_u32 v[2:3], s[4:5], s2, v8, 0
	v_addc_co_u32_e32 v1, vcc, v25, v1, vcc
	global_store_dwordx4 v[0:1], v[55:58], off
	v_lshlrev_b64 v[0:1], 4, v[9:10]
	v_mad_u64_u32 v[8:9], s[4:5], s3, v8, v[3:4]
	v_add_u32_e32 v9, 0x5a0, v80
	v_mul_hi_u32 v10, v9, s1
	v_add_co_u32_e32 v0, vcc, v24, v0
	v_addc_co_u32_e32 v1, vcc, v25, v1, vcc
	v_mov_b32_e32 v3, v8
	global_store_dwordx4 v[0:1], v[38:41], off
	v_lshlrev_b64 v[0:1], 4, v[2:3]
	v_lshrrev_b32_e32 v2, 9, v10
	v_mad_u32_u24 v10, v2, s0, v9
	v_mad_u64_u32 v[2:3], s[0:1], s2, v10, 0
	v_add_u32_e32 v11, 0x640, v10
	v_add_co_u32_e32 v0, vcc, v24, v0
	v_mad_u64_u32 v[8:9], s[0:1], s3, v10, v[3:4]
	v_mad_u64_u32 v[9:10], s[0:1], s2, v11, 0
	v_addc_co_u32_e32 v1, vcc, v25, v1, vcc
	v_mov_b32_e32 v3, v8
	global_store_dwordx4 v[0:1], v[44:47], off
	v_lshlrev_b64 v[0:1], 4, v[2:3]
	v_mov_b32_e32 v2, v10
	v_mad_u64_u32 v[2:3], s[0:1], s3, v11, v[2:3]
	v_add_co_u32_e32 v0, vcc, v24, v0
	v_addc_co_u32_e32 v1, vcc, v25, v1, vcc
	v_mov_b32_e32 v10, v2
	global_store_dwordx4 v[0:1], v[20:23], off
	v_lshlrev_b64 v[0:1], 4, v[9:10]
	v_add_co_u32_e32 v0, vcc, v24, v0
	v_addc_co_u32_e32 v1, vcc, v25, v1, vcc
	global_store_dwordx4 v[0:1], v[4:7], off
.LBB0_15:
	s_endpgm
	.section	.rodata,"a",@progbits
	.p2align	6, 0x0
	.amdhsa_kernel fft_rtc_back_len3200_factors_10_10_4_4_2_wgs_160_tpt_160_halfLds_dp_ip_CI_sbrr_dirReg
		.amdhsa_group_segment_fixed_size 0
		.amdhsa_private_segment_fixed_size 0
		.amdhsa_kernarg_size 88
		.amdhsa_user_sgpr_count 6
		.amdhsa_user_sgpr_private_segment_buffer 1
		.amdhsa_user_sgpr_dispatch_ptr 0
		.amdhsa_user_sgpr_queue_ptr 0
		.amdhsa_user_sgpr_kernarg_segment_ptr 1
		.amdhsa_user_sgpr_dispatch_id 0
		.amdhsa_user_sgpr_flat_scratch_init 0
		.amdhsa_user_sgpr_private_segment_size 0
		.amdhsa_uses_dynamic_stack 0
		.amdhsa_system_sgpr_private_segment_wavefront_offset 0
		.amdhsa_system_sgpr_workgroup_id_x 1
		.amdhsa_system_sgpr_workgroup_id_y 0
		.amdhsa_system_sgpr_workgroup_id_z 0
		.amdhsa_system_sgpr_workgroup_info 0
		.amdhsa_system_vgpr_workitem_id 0
		.amdhsa_next_free_vgpr 131
		.amdhsa_next_free_sgpr 24
		.amdhsa_reserve_vcc 1
		.amdhsa_reserve_flat_scratch 0
		.amdhsa_float_round_mode_32 0
		.amdhsa_float_round_mode_16_64 0
		.amdhsa_float_denorm_mode_32 3
		.amdhsa_float_denorm_mode_16_64 3
		.amdhsa_dx10_clamp 1
		.amdhsa_ieee_mode 1
		.amdhsa_fp16_overflow 0
		.amdhsa_exception_fp_ieee_invalid_op 0
		.amdhsa_exception_fp_denorm_src 0
		.amdhsa_exception_fp_ieee_div_zero 0
		.amdhsa_exception_fp_ieee_overflow 0
		.amdhsa_exception_fp_ieee_underflow 0
		.amdhsa_exception_fp_ieee_inexact 0
		.amdhsa_exception_int_div_zero 0
	.end_amdhsa_kernel
	.text
.Lfunc_end0:
	.size	fft_rtc_back_len3200_factors_10_10_4_4_2_wgs_160_tpt_160_halfLds_dp_ip_CI_sbrr_dirReg, .Lfunc_end0-fft_rtc_back_len3200_factors_10_10_4_4_2_wgs_160_tpt_160_halfLds_dp_ip_CI_sbrr_dirReg
                                        ; -- End function
	.section	.AMDGPU.csdata,"",@progbits
; Kernel info:
; codeLenInByte = 15784
; NumSgprs: 28
; NumVgprs: 131
; ScratchSize: 0
; MemoryBound: 1
; FloatMode: 240
; IeeeMode: 1
; LDSByteSize: 0 bytes/workgroup (compile time only)
; SGPRBlocks: 3
; VGPRBlocks: 32
; NumSGPRsForWavesPerEU: 28
; NumVGPRsForWavesPerEU: 131
; Occupancy: 1
; WaveLimiterHint : 1
; COMPUTE_PGM_RSRC2:SCRATCH_EN: 0
; COMPUTE_PGM_RSRC2:USER_SGPR: 6
; COMPUTE_PGM_RSRC2:TRAP_HANDLER: 0
; COMPUTE_PGM_RSRC2:TGID_X_EN: 1
; COMPUTE_PGM_RSRC2:TGID_Y_EN: 0
; COMPUTE_PGM_RSRC2:TGID_Z_EN: 0
; COMPUTE_PGM_RSRC2:TIDIG_COMP_CNT: 0
	.type	__hip_cuid_c4527df260dd0eb7,@object ; @__hip_cuid_c4527df260dd0eb7
	.section	.bss,"aw",@nobits
	.globl	__hip_cuid_c4527df260dd0eb7
__hip_cuid_c4527df260dd0eb7:
	.byte	0                               ; 0x0
	.size	__hip_cuid_c4527df260dd0eb7, 1

	.ident	"AMD clang version 19.0.0git (https://github.com/RadeonOpenCompute/llvm-project roc-6.4.0 25133 c7fe45cf4b819c5991fe208aaa96edf142730f1d)"
	.section	".note.GNU-stack","",@progbits
	.addrsig
	.addrsig_sym __hip_cuid_c4527df260dd0eb7
	.amdgpu_metadata
---
amdhsa.kernels:
  - .args:
      - .actual_access:  read_only
        .address_space:  global
        .offset:         0
        .size:           8
        .value_kind:     global_buffer
      - .offset:         8
        .size:           8
        .value_kind:     by_value
      - .actual_access:  read_only
        .address_space:  global
        .offset:         16
        .size:           8
        .value_kind:     global_buffer
      - .actual_access:  read_only
        .address_space:  global
        .offset:         24
        .size:           8
        .value_kind:     global_buffer
      - .offset:         32
        .size:           8
        .value_kind:     by_value
      - .actual_access:  read_only
        .address_space:  global
        .offset:         40
        .size:           8
        .value_kind:     global_buffer
      - .actual_access:  read_only
        .address_space:  global
        .offset:         48
        .size:           8
        .value_kind:     global_buffer
      - .offset:         56
        .size:           4
        .value_kind:     by_value
      - .actual_access:  read_only
        .address_space:  global
        .offset:         64
        .size:           8
        .value_kind:     global_buffer
      - .actual_access:  read_only
        .address_space:  global
        .offset:         72
        .size:           8
        .value_kind:     global_buffer
      - .address_space:  global
        .offset:         80
        .size:           8
        .value_kind:     global_buffer
    .group_segment_fixed_size: 0
    .kernarg_segment_align: 8
    .kernarg_segment_size: 88
    .language:       OpenCL C
    .language_version:
      - 2
      - 0
    .max_flat_workgroup_size: 160
    .name:           fft_rtc_back_len3200_factors_10_10_4_4_2_wgs_160_tpt_160_halfLds_dp_ip_CI_sbrr_dirReg
    .private_segment_fixed_size: 0
    .sgpr_count:     28
    .sgpr_spill_count: 0
    .symbol:         fft_rtc_back_len3200_factors_10_10_4_4_2_wgs_160_tpt_160_halfLds_dp_ip_CI_sbrr_dirReg.kd
    .uniform_work_group_size: 1
    .uses_dynamic_stack: false
    .vgpr_count:     131
    .vgpr_spill_count: 0
    .wavefront_size: 64
amdhsa.target:   amdgcn-amd-amdhsa--gfx906
amdhsa.version:
  - 1
  - 2
...

	.end_amdgpu_metadata
